;; amdgpu-corpus repo=ROCm/rocFFT kind=compiled arch=gfx950 opt=O3
	.text
	.amdgcn_target "amdgcn-amd-amdhsa--gfx950"
	.amdhsa_code_object_version 6
	.protected	fft_rtc_fwd_len3200_factors_10_10_4_4_2_wgs_160_tpt_160_halfLds_dp_op_CI_CI_sbrr_dirReg ; -- Begin function fft_rtc_fwd_len3200_factors_10_10_4_4_2_wgs_160_tpt_160_halfLds_dp_op_CI_CI_sbrr_dirReg
	.globl	fft_rtc_fwd_len3200_factors_10_10_4_4_2_wgs_160_tpt_160_halfLds_dp_op_CI_CI_sbrr_dirReg
	.p2align	8
	.type	fft_rtc_fwd_len3200_factors_10_10_4_4_2_wgs_160_tpt_160_halfLds_dp_op_CI_CI_sbrr_dirReg,@function
fft_rtc_fwd_len3200_factors_10_10_4_4_2_wgs_160_tpt_160_halfLds_dp_op_CI_CI_sbrr_dirReg: ; @fft_rtc_fwd_len3200_factors_10_10_4_4_2_wgs_160_tpt_160_halfLds_dp_op_CI_CI_sbrr_dirReg
; %bb.0:
	s_load_dwordx4 s[12:15], s[0:1], 0x18
	s_load_dwordx4 s[8:11], s[0:1], 0x0
	;; [unrolled: 1-line block ×3, first 2 shown]
	v_mul_u32_u24_e32 v1, 0x19a, v0
	v_add_u32_sdwa v6, s2, v1 dst_sel:DWORD dst_unused:UNUSED_PAD src0_sel:DWORD src1_sel:WORD_1
	s_waitcnt lgkmcnt(0)
	s_load_dwordx2 s[18:19], s[12:13], 0x0
	s_load_dwordx2 s[16:17], s[14:15], 0x0
	v_mov_b32_e32 v2, 0
	v_cmp_lt_u64_e64 s[2:3], s[10:11], 2
	v_mov_b32_e32 v7, v2
	s_and_b64 vcc, exec, s[2:3]
	v_mov_b64_e32 v[4:5], 0
	s_cbranch_vccnz .LBB0_8
; %bb.1:
	s_load_dwordx2 s[2:3], s[0:1], 0x10
	s_add_u32 s20, s14, 8
	s_addc_u32 s21, s15, 0
	s_add_u32 s22, s12, 8
	s_addc_u32 s23, s13, 0
	s_waitcnt lgkmcnt(0)
	s_add_u32 s24, s2, 8
	v_mov_b64_e32 v[4:5], 0
	s_addc_u32 s25, s3, 0
	s_mov_b64 s[26:27], 1
	v_mov_b64_e32 v[84:85], v[4:5]
.LBB0_2:                                ; =>This Inner Loop Header: Depth=1
	s_load_dwordx2 s[28:29], s[24:25], 0x0
                                        ; implicit-def: $vgpr88_vgpr89
	s_waitcnt lgkmcnt(0)
	v_or_b32_e32 v3, s29, v7
	v_cmp_ne_u64_e32 vcc, 0, v[2:3]
	s_and_saveexec_b64 s[2:3], vcc
	s_xor_b64 s[30:31], exec, s[2:3]
	s_cbranch_execz .LBB0_4
; %bb.3:                                ;   in Loop: Header=BB0_2 Depth=1
	v_cvt_f32_u32_e32 v1, s28
	v_cvt_f32_u32_e32 v3, s29
	s_sub_u32 s2, 0, s28
	s_subb_u32 s3, 0, s29
	v_fmac_f32_e32 v1, 0x4f800000, v3
	v_rcp_f32_e32 v1, v1
	s_nop 0
	v_mul_f32_e32 v1, 0x5f7ffffc, v1
	v_mul_f32_e32 v3, 0x2f800000, v1
	v_trunc_f32_e32 v3, v3
	v_fmac_f32_e32 v1, 0xcf800000, v3
	v_cvt_u32_f32_e32 v3, v3
	v_cvt_u32_f32_e32 v1, v1
	v_mul_lo_u32 v8, s2, v3
	v_mul_hi_u32 v10, s2, v1
	v_mul_lo_u32 v9, s3, v1
	v_add_u32_e32 v10, v10, v8
	v_mul_lo_u32 v12, s2, v1
	v_add_u32_e32 v13, v10, v9
	v_mul_hi_u32 v8, v1, v12
	v_mul_hi_u32 v11, v1, v13
	v_mul_lo_u32 v10, v1, v13
	v_mov_b32_e32 v9, v2
	v_lshl_add_u64 v[8:9], v[8:9], 0, v[10:11]
	v_mul_hi_u32 v11, v3, v12
	v_mul_lo_u32 v12, v3, v12
	v_add_co_u32_e32 v8, vcc, v8, v12
	v_mul_hi_u32 v10, v3, v13
	s_nop 0
	v_addc_co_u32_e32 v8, vcc, v9, v11, vcc
	v_mov_b32_e32 v9, v2
	s_nop 0
	v_addc_co_u32_e32 v11, vcc, 0, v10, vcc
	v_mul_lo_u32 v10, v3, v13
	v_lshl_add_u64 v[8:9], v[8:9], 0, v[10:11]
	v_add_co_u32_e32 v1, vcc, v1, v8
	v_mul_lo_u32 v10, s2, v1
	s_nop 0
	v_addc_co_u32_e32 v3, vcc, v3, v9, vcc
	v_mul_lo_u32 v8, s2, v3
	v_mul_hi_u32 v9, s2, v1
	v_add_u32_e32 v8, v9, v8
	v_mul_lo_u32 v9, s3, v1
	v_add_u32_e32 v12, v8, v9
	v_mul_hi_u32 v14, v3, v10
	v_mul_lo_u32 v15, v3, v10
	v_mul_hi_u32 v9, v1, v12
	v_mul_lo_u32 v8, v1, v12
	v_mul_hi_u32 v10, v1, v10
	v_mov_b32_e32 v11, v2
	v_lshl_add_u64 v[8:9], v[10:11], 0, v[8:9]
	v_add_co_u32_e32 v8, vcc, v8, v15
	v_mul_hi_u32 v13, v3, v12
	s_nop 0
	v_addc_co_u32_e32 v8, vcc, v9, v14, vcc
	v_mul_lo_u32 v10, v3, v12
	s_nop 0
	v_addc_co_u32_e32 v11, vcc, 0, v13, vcc
	v_mov_b32_e32 v9, v2
	v_lshl_add_u64 v[8:9], v[8:9], 0, v[10:11]
	v_add_co_u32_e32 v1, vcc, v1, v8
	v_mul_hi_u32 v10, v6, v1
	s_nop 0
	v_addc_co_u32_e32 v3, vcc, v3, v9, vcc
	v_mad_u64_u32 v[8:9], s[2:3], v6, v3, 0
	v_mov_b32_e32 v11, v2
	v_lshl_add_u64 v[8:9], v[10:11], 0, v[8:9]
	v_mad_u64_u32 v[12:13], s[2:3], v7, v1, 0
	v_add_co_u32_e32 v1, vcc, v8, v12
	v_mad_u64_u32 v[10:11], s[2:3], v7, v3, 0
	s_nop 0
	v_addc_co_u32_e32 v8, vcc, v9, v13, vcc
	v_mov_b32_e32 v9, v2
	s_nop 0
	v_addc_co_u32_e32 v11, vcc, 0, v11, vcc
	v_lshl_add_u64 v[8:9], v[8:9], 0, v[10:11]
	v_mul_lo_u32 v1, s29, v8
	v_mul_lo_u32 v3, s28, v9
	v_mad_u64_u32 v[10:11], s[2:3], s28, v8, 0
	v_add3_u32 v1, v11, v3, v1
	v_sub_u32_e32 v3, v7, v1
	v_mov_b32_e32 v11, s29
	v_sub_co_u32_e32 v14, vcc, v6, v10
	v_lshl_add_u64 v[12:13], v[8:9], 0, 1
	s_nop 0
	v_subb_co_u32_e64 v3, s[2:3], v3, v11, vcc
	v_subrev_co_u32_e64 v10, s[2:3], s28, v14
	v_subb_co_u32_e32 v1, vcc, v7, v1, vcc
	s_nop 0
	v_subbrev_co_u32_e64 v3, s[2:3], 0, v3, s[2:3]
	v_cmp_le_u32_e64 s[2:3], s29, v3
	v_cmp_le_u32_e32 vcc, s29, v1
	s_nop 0
	v_cndmask_b32_e64 v11, 0, -1, s[2:3]
	v_cmp_le_u32_e64 s[2:3], s28, v10
	s_nop 1
	v_cndmask_b32_e64 v10, 0, -1, s[2:3]
	v_cmp_eq_u32_e64 s[2:3], s29, v3
	s_nop 1
	v_cndmask_b32_e64 v3, v11, v10, s[2:3]
	v_lshl_add_u64 v[10:11], v[8:9], 0, 2
	v_cmp_ne_u32_e64 s[2:3], 0, v3
	s_nop 1
	v_cndmask_b32_e64 v3, v13, v11, s[2:3]
	v_cndmask_b32_e64 v11, 0, -1, vcc
	v_cmp_le_u32_e32 vcc, s28, v14
	s_nop 1
	v_cndmask_b32_e64 v13, 0, -1, vcc
	v_cmp_eq_u32_e32 vcc, s29, v1
	s_nop 1
	v_cndmask_b32_e32 v1, v11, v13, vcc
	v_cmp_ne_u32_e32 vcc, 0, v1
	v_cndmask_b32_e64 v1, v12, v10, s[2:3]
	s_nop 0
	v_cndmask_b32_e32 v89, v9, v3, vcc
	v_cndmask_b32_e32 v88, v8, v1, vcc
.LBB0_4:                                ;   in Loop: Header=BB0_2 Depth=1
	s_andn2_saveexec_b64 s[2:3], s[30:31]
	s_cbranch_execz .LBB0_6
; %bb.5:                                ;   in Loop: Header=BB0_2 Depth=1
	v_cvt_f32_u32_e32 v1, s28
	s_sub_i32 s30, 0, s28
	v_mov_b32_e32 v89, v2
	v_rcp_iflag_f32_e32 v1, v1
	s_nop 0
	v_mul_f32_e32 v1, 0x4f7ffffe, v1
	v_cvt_u32_f32_e32 v1, v1
	v_mul_lo_u32 v3, s30, v1
	v_mul_hi_u32 v3, v1, v3
	v_add_u32_e32 v1, v1, v3
	v_mul_hi_u32 v1, v6, v1
	v_mul_lo_u32 v3, v1, s28
	v_sub_u32_e32 v3, v6, v3
	v_add_u32_e32 v8, 1, v1
	v_subrev_u32_e32 v9, s28, v3
	v_cmp_le_u32_e32 vcc, s28, v3
	s_nop 1
	v_cndmask_b32_e32 v3, v3, v9, vcc
	v_cndmask_b32_e32 v1, v1, v8, vcc
	v_add_u32_e32 v8, 1, v1
	v_cmp_le_u32_e32 vcc, s28, v3
	s_nop 1
	v_cndmask_b32_e32 v88, v1, v8, vcc
.LBB0_6:                                ;   in Loop: Header=BB0_2 Depth=1
	s_or_b64 exec, exec, s[2:3]
	v_mad_u64_u32 v[8:9], s[2:3], v88, s28, 0
	s_load_dwordx2 s[2:3], s[22:23], 0x0
	v_mul_lo_u32 v1, v89, s28
	v_mul_lo_u32 v3, v88, s29
	s_load_dwordx2 s[28:29], s[20:21], 0x0
	s_add_u32 s26, s26, 1
	v_add3_u32 v1, v9, v3, v1
	v_sub_co_u32_e32 v3, vcc, v6, v8
	s_addc_u32 s27, s27, 0
	s_nop 0
	v_subb_co_u32_e32 v1, vcc, v7, v1, vcc
	s_add_u32 s20, s20, 8
	s_waitcnt lgkmcnt(0)
	v_mul_lo_u32 v6, s2, v1
	v_mul_lo_u32 v7, s3, v3
	v_mad_u64_u32 v[4:5], s[2:3], s2, v3, v[4:5]
	s_addc_u32 s21, s21, 0
	v_add3_u32 v5, v7, v5, v6
	v_mul_lo_u32 v1, s28, v1
	v_mul_lo_u32 v6, s29, v3
	v_mad_u64_u32 v[84:85], s[2:3], s28, v3, v[84:85]
	s_add_u32 s22, s22, 8
	v_add3_u32 v85, v6, v85, v1
	s_addc_u32 s23, s23, 0
	v_mov_b64_e32 v[6:7], s[10:11]
	s_add_u32 s24, s24, 8
	v_cmp_ge_u64_e32 vcc, s[26:27], v[6:7]
	s_addc_u32 s25, s25, 0
	s_cbranch_vccnz .LBB0_9
; %bb.7:                                ;   in Loop: Header=BB0_2 Depth=1
	v_mov_b64_e32 v[6:7], v[88:89]
	s_branch .LBB0_2
.LBB0_8:
	v_mov_b64_e32 v[84:85], v[4:5]
	v_mov_b64_e32 v[88:89], v[6:7]
.LBB0_9:
	s_load_dwordx2 s[0:1], s[0:1], 0x28
	s_lshl_b64 s[10:11], s[10:11], 3
	s_add_u32 s2, s14, s10
	s_addc_u32 s3, s15, s11
                                        ; implicit-def: $vgpr96_vgpr97
                                        ; implicit-def: $vgpr86
                                        ; implicit-def: $vgpr90
                                        ; implicit-def: $vgpr92
                                        ; implicit-def: $vgpr94
                                        ; implicit-def: $vgpr98
                                        ; implicit-def: $vgpr100
                                        ; implicit-def: $vgpr102
                                        ; implicit-def: $vgpr104
	s_waitcnt lgkmcnt(0)
	v_cmp_gt_u64_e32 vcc, s[0:1], v[88:89]
	v_cmp_le_u64_e64 s[0:1], s[0:1], v[88:89]
	s_and_saveexec_b64 s[14:15], s[0:1]
	s_xor_b64 s[0:1], exec, s[14:15]
	s_cbranch_execz .LBB0_11
; %bb.10:
	s_mov_b32 s14, 0x199999a
	v_mul_hi_u32 v1, v0, s14
	v_mul_u32_u24_e32 v1, 0xa0, v1
	v_sub_u32_e32 v86, v0, v1
	v_add_u32_e32 v90, 0xa0, v86
	v_add_u32_e32 v92, 0x280, v86
	;; [unrolled: 1-line block ×3, first 2 shown]
	v_or_b32_e32 v98, 0x500, v86
	v_add_u32_e32 v100, 0x320, v86
	v_add_u32_e32 v97, 0x140, v86
	;; [unrolled: 1-line block ×5, first 2 shown]
                                        ; implicit-def: $vgpr0
                                        ; implicit-def: $vgpr4_vgpr5
.LBB0_11:
	s_or_saveexec_b64 s[0:1], s[0:1]
                                        ; implicit-def: $vgpr46_vgpr47
                                        ; implicit-def: $vgpr66_vgpr67
                                        ; implicit-def: $vgpr54_vgpr55
                                        ; implicit-def: $vgpr70_vgpr71
                                        ; implicit-def: $vgpr50_vgpr51
                                        ; implicit-def: $vgpr2_vgpr3
                                        ; implicit-def: $vgpr38_vgpr39
                                        ; implicit-def: $vgpr10_vgpr11
                                        ; implicit-def: $vgpr18_vgpr19
                                        ; implicit-def: $vgpr30_vgpr31
                                        ; implicit-def: $vgpr26_vgpr27
                                        ; implicit-def: $vgpr34_vgpr35
                                        ; implicit-def: $vgpr22_vgpr23
                                        ; implicit-def: $vgpr14_vgpr15
                                        ; implicit-def: $vgpr6_vgpr7
                                        ; implicit-def: $vgpr74_vgpr75
                                        ; implicit-def: $vgpr58_vgpr59
                                        ; implicit-def: $vgpr78_vgpr79
                                        ; implicit-def: $vgpr62_vgpr63
                                        ; implicit-def: $vgpr42_vgpr43
	s_xor_b64 exec, exec, s[0:1]
	s_cbranch_execz .LBB0_13
; %bb.12:
	s_add_u32 s10, s12, s10
	s_addc_u32 s11, s13, s11
	s_load_dwordx2 s[10:11], s[10:11], 0x0
	s_mov_b32 s12, 0x199999a
	s_waitcnt lgkmcnt(0)
	v_mul_lo_u32 v1, s11, v88
	v_mul_lo_u32 v2, s10, v89
	v_mad_u64_u32 v[6:7], s[10:11], s10, v88, 0
	v_add3_u32 v7, v7, v2, v1
	v_mul_hi_u32 v1, v0, s12
	v_mul_u32_u24_e32 v1, 0xa0, v1
	v_sub_u32_e32 v86, v0, v1
	v_mad_u64_u32 v[2:3], s[10:11], s18, v86, 0
	v_mov_b32_e32 v0, v3
	v_mad_u64_u32 v[0:1], s[10:11], s19, v86, v[0:1]
	v_mov_b32_e32 v3, v0
	v_lshl_add_u64 v[0:1], v[6:7], 4, s[4:5]
	v_add_u32_e32 v92, 0x280, v86
	v_lshl_add_u64 v[0:1], v[4:5], 4, v[0:1]
	v_mad_u64_u32 v[4:5], s[4:5], s18, v92, 0
	v_mov_b32_e32 v6, v5
	v_mad_u64_u32 v[6:7], s[4:5], s19, v92, v[6:7]
	v_add_u32_e32 v94, 0x3c0, v86
	v_mov_b32_e32 v5, v6
	v_mad_u64_u32 v[6:7], s[4:5], s18, v94, 0
	v_mov_b32_e32 v8, v7
	v_mad_u64_u32 v[8:9], s[4:5], s19, v94, v[8:9]
	v_or_b32_e32 v98, 0x500, v86
	v_mov_b32_e32 v7, v8
	v_mad_u64_u32 v[8:9], s[4:5], s18, v98, 0
	v_mov_b32_e32 v10, v9
	v_mad_u64_u32 v[10:11], s[4:5], s19, v98, v[10:11]
	v_add_u32_e32 v13, 0x640, v86
	v_mov_b32_e32 v9, v10
	v_mad_u64_u32 v[10:11], s[4:5], s18, v13, 0
	v_mov_b32_e32 v12, v11
	v_mad_u64_u32 v[12:13], s[4:5], s19, v13, v[12:13]
	v_add_u32_e32 v15, 0x780, v86
	;; [unrolled: 5-line block ×3, first 2 shown]
	v_mov_b32_e32 v13, v14
	v_mad_u64_u32 v[14:15], s[4:5], s18, v17, 0
	v_mov_b32_e32 v16, v15
	v_mad_u64_u32 v[16:17], s[4:5], s19, v17, v[16:17]
	v_or_b32_e32 v19, 0xa00, v86
	v_mov_b32_e32 v15, v16
	v_mad_u64_u32 v[16:17], s[4:5], s18, v19, 0
	v_mov_b32_e32 v18, v17
	v_mad_u64_u32 v[18:19], s[4:5], s19, v19, v[18:19]
	v_add_u32_e32 v21, 0xb40, v86
	v_mov_b32_e32 v17, v18
	v_mad_u64_u32 v[18:19], s[4:5], s18, v21, 0
	v_mov_b32_e32 v20, v19
	v_mad_u64_u32 v[20:21], s[4:5], s19, v21, v[20:21]
	v_add_u32_e32 v90, 0xa0, v86
	v_mov_b32_e32 v19, v20
	v_mad_u64_u32 v[20:21], s[4:5], s18, v90, 0
	v_mov_b32_e32 v22, v21
	v_mad_u64_u32 v[22:23], s[4:5], s19, v90, v[22:23]
	v_add_u32_e32 v97, 0x140, v86
	v_mov_b32_e32 v21, v22
	v_mad_u64_u32 v[22:23], s[4:5], s18, v97, 0
	v_mov_b32_e32 v24, v23
	v_add_u32_e32 v96, 0x1e0, v86
	v_mad_u64_u32 v[24:25], s[4:5], s19, v97, v[24:25]
	v_mov_b32_e32 v23, v24
	v_mad_u64_u32 v[24:25], s[4:5], s18, v96, 0
	v_mov_b32_e32 v26, v25
	v_mad_u64_u32 v[26:27], s[4:5], s19, v96, v[26:27]
	v_add_u32_e32 v100, 0x320, v86
	v_mov_b32_e32 v25, v26
	v_mad_u64_u32 v[26:27], s[4:5], s18, v100, 0
	v_mov_b32_e32 v28, v27
	v_mad_u64_u32 v[28:29], s[4:5], s19, v100, v[28:29]
	v_add_u32_e32 v102, 0x460, v86
	;; [unrolled: 5-line block ×8, first 2 shown]
	v_mov_b32_e32 v39, v40
	v_mad_u64_u32 v[40:41], s[4:5], s18, v43, 0
	v_mov_b32_e32 v42, v41
	v_mad_u64_u32 v[42:43], s[4:5], s19, v43, v[42:43]
	v_mov_b32_e32 v41, v42
	v_lshl_add_u64 v[80:81], v[2:3], 4, v[0:1]
	v_lshl_add_u64 v[16:17], v[16:17], 4, v[0:1]
	;; [unrolled: 1-line block ×20, first 2 shown]
	global_load_dwordx4 v[40:43], v[80:81], off
	global_load_dwordx4 v[64:67], v[82:83], off
	;; [unrolled: 1-line block ×15, first 2 shown]
                                        ; kill: killed $vgpr28_vgpr29
                                        ; kill: killed $vgpr108_vgpr109
                                        ; kill: killed $vgpr114_vgpr115
                                        ; kill: killed $vgpr80_vgpr81
                                        ; kill: killed $vgpr30_vgpr31
                                        ; kill: killed $vgpr24_vgpr25
                                        ; kill: killed $vgpr20_vgpr21
                                        ; kill: killed $vgpr112_vgpr113
                                        ; kill: killed $vgpr82_vgpr83
                                        ; kill: killed $vgpr22_vgpr23
                                        ; kill: killed $vgpr18_vgpr19
                                        ; kill: killed $vgpr26_vgpr27
                                        ; kill: killed $vgpr110_vgpr111
                                        ; kill: killed $vgpr106_vgpr107
                                        ; kill: killed $vgpr16_vgpr17
	s_nop 0
	global_load_dwordx4 v[20:23], v[116:117], off
	global_load_dwordx4 v[32:35], v[118:119], off
	;; [unrolled: 1-line block ×5, first 2 shown]
.LBB0_13:
	s_or_b64 exec, exec, s[0:1]
	s_waitcnt vmcnt(18)
	v_add_f64 v[80:81], v[64:65], v[40:41]
	v_add_f64 v[82:83], v[66:67], v[42:43]
	s_waitcnt vmcnt(16)
	v_add_f64 v[80:81], v[76:77], v[80:81]
	v_add_f64 v[82:83], v[78:79], v[82:83]
	s_waitcnt vmcnt(14)
	v_add_f64 v[108:109], v[78:79], -v[70:71]
	v_add_f64 v[114:115], v[70:71], v[78:79]
	v_add_f64 v[116:117], v[66:67], -v[78:79]
	v_add_f64 v[78:79], v[78:79], -v[66:67]
	s_waitcnt vmcnt(12)
	v_add_f64 v[118:119], v[66:67], -v[74:75]
	v_add_f64 v[122:123], v[66:67], v[74:75]
	v_add_f64 v[66:67], v[68:69], v[80:81]
	;; [unrolled: 1-line block ×4, first 2 shown]
	v_add_f64 v[110:111], v[64:65], -v[76:77]
	v_add_f64 v[112:113], v[76:77], -v[64:65]
	;; [unrolled: 1-line block ×3, first 2 shown]
	v_add_f64 v[120:121], v[64:65], v[72:73]
	v_add_f64 v[64:65], v[64:65], -v[72:73]
	v_add_f64 v[82:83], v[72:73], -v[68:69]
	;; [unrolled: 1-line block ×3, first 2 shown]
	v_add_f64 v[72:73], v[72:73], v[66:67]
	v_add_f64 v[66:67], v[74:75], v[80:81]
	s_waitcnt vmcnt(9)
	v_add_f64 v[80:81], v[46:47], v[62:63]
	v_add_f64 v[124:125], v[74:75], -v[70:71]
	v_add_f64 v[70:71], v[70:71], -v[74:75]
	v_add_f64 v[74:75], v[44:45], v[60:61]
	v_add_f64 v[80:81], v[54:55], v[80:81]
	;; [unrolled: 1-line block ×6, first 2 shown]
	s_mov_b32 s14, 0x134454ff
	v_add_f64 v[128:129], v[54:55], -v[58:59]
	v_add_f64 v[134:135], v[54:55], v[58:59]
	v_add_f64 v[136:137], v[62:63], -v[54:55]
	v_add_f64 v[54:55], v[54:55], -v[62:63]
	;; [unrolled: 1-line block ×3, first 2 shown]
	v_add_f64 v[62:63], v[50:51], v[62:63]
	v_add_f64 v[74:75], v[56:57], v[74:75]
	v_add_f64 v[144:145], v[50:51], -v[58:59]
	v_add_f64 v[58:59], v[58:59], -v[50:51]
	v_add_f64 v[146:147], v[50:51], v[80:81]
	v_fma_f64 v[50:51], -0.5, v[126:127], v[44:45]
	v_fmac_f64_e32 v[44:45], -0.5, v[140:141]
	s_mov_b32 s15, 0x3fee6f0e
	s_mov_b32 s12, 0x4755a5e
	;; [unrolled: 1-line block ×4, first 2 shown]
	v_add_f64 v[130:131], v[60:61], -v[52:53]
	v_add_f64 v[132:133], v[52:53], -v[60:61]
	;; [unrolled: 1-line block ×6, first 2 shown]
	v_add_f64 v[48:49], v[48:49], v[74:75]
	v_fma_f64 v[74:75], -0.5, v[134:135], v[46:47]
	v_fmac_f64_e32 v[46:47], -0.5, v[62:63]
	v_add_f64 v[54:55], v[58:59], v[54:55]
	s_mov_b32 s13, 0x3fe2cf23
	s_mov_b32 s0, 0x372fe950
	;; [unrolled: 1-line block ×4, first 2 shown]
	v_fma_f64 v[58:59], s[4:5], v[128:129], v[44:45]
	v_fmac_f64_e32 v[44:45], s[14:15], v[128:129]
	v_add_f64 v[56:57], v[56:57], v[132:133]
	s_mov_b32 s1, 0x3fd3c6ef
	v_fmac_f64_e32 v[44:45], s[10:11], v[138:139]
	v_fma_f64 v[62:63], s[14:15], v[52:53], v[46:47]
	v_fmac_f64_e32 v[46:47], s[4:5], v[52:53]
	v_fmac_f64_e32 v[44:45], s[0:1], v[56:57]
	;; [unrolled: 1-line block ×4, first 2 shown]
	v_mul_f64 v[80:81], v[44:45], s[0:1]
	v_fma_f64 v[80:81], v[46:47], s[14:15], -v[80:81]
	v_mul_f64 v[46:47], v[46:47], s[0:1]
	v_fma_f64 v[126:127], v[44:45], s[4:5], -v[46:47]
	v_add_f64 v[44:45], v[82:83], v[110:111]
	v_fma_f64 v[82:83], -0.5, v[106:107], v[40:41]
	v_fma_f64 v[46:47], s[14:15], v[118:119], v[82:83]
	v_fmac_f64_e32 v[82:83], s[4:5], v[118:119]
	v_fmac_f64_e32 v[46:47], s[12:13], v[108:109]
	;; [unrolled: 1-line block ×3, first 2 shown]
	v_fmac_f64_e32 v[40:41], -0.5, v[120:121]
	v_fmac_f64_e32 v[46:47], s[0:1], v[44:45]
	v_fmac_f64_e32 v[82:83], s[0:1], v[44:45]
	v_add_f64 v[44:45], v[68:69], v[112:113]
	v_fma_f64 v[68:69], s[4:5], v[108:109], v[40:41]
	v_fmac_f64_e32 v[40:41], s[14:15], v[108:109]
	v_fma_f64 v[106:107], -0.5, v[114:115], v[42:43]
	v_fmac_f64_e32 v[68:69], s[12:13], v[118:119]
	v_fmac_f64_e32 v[40:41], s[10:11], v[118:119]
	v_fma_f64 v[108:109], s[4:5], v[64:65], v[106:107]
	v_fmac_f64_e32 v[106:107], s[14:15], v[64:65]
	v_fmac_f64_e32 v[68:69], s[0:1], v[44:45]
	;; [unrolled: 1-line block ×3, first 2 shown]
	v_add_f64 v[44:45], v[124:125], v[116:117]
	v_fmac_f64_e32 v[108:109], s[10:11], v[76:77]
	v_fmac_f64_e32 v[106:107], s[12:13], v[76:77]
	v_fmac_f64_e32 v[42:43], -0.5, v[122:123]
	v_fmac_f64_e32 v[108:109], s[0:1], v[44:45]
	v_fmac_f64_e32 v[106:107], s[0:1], v[44:45]
	v_add_f64 v[44:45], v[70:71], v[78:79]
	v_fma_f64 v[78:79], s[14:15], v[76:77], v[42:43]
	v_fmac_f64_e32 v[42:43], s[4:5], v[76:77]
	v_fmac_f64_e32 v[78:79], s[10:11], v[64:65]
	v_fmac_f64_e32 v[42:43], s[12:13], v[64:65]
	v_fma_f64 v[64:65], s[14:15], v[138:139], v[50:51]
	v_fmac_f64_e32 v[50:51], s[4:5], v[138:139]
	v_fmac_f64_e32 v[58:59], s[12:13], v[138:139]
	;; [unrolled: 1-line block ×4, first 2 shown]
	v_add_f64 v[44:45], v[142:143], v[130:131]
	v_fmac_f64_e32 v[64:65], s[12:13], v[128:129]
	v_fmac_f64_e32 v[50:51], s[10:11], v[128:129]
	;; [unrolled: 1-line block ×3, first 2 shown]
	v_fma_f64 v[56:57], s[4:5], v[60:61], v[74:75]
	v_fmac_f64_e32 v[64:65], s[0:1], v[44:45]
	v_fmac_f64_e32 v[50:51], s[0:1], v[44:45]
	v_add_f64 v[44:45], v[144:145], v[136:137]
	v_fmac_f64_e32 v[56:57], s[10:11], v[52:53]
	v_fmac_f64_e32 v[74:75], s[14:15], v[60:61]
	s_mov_b32 s18, 0x9b97f4a8
	v_fmac_f64_e32 v[74:75], s[12:13], v[52:53]
	v_fmac_f64_e32 v[56:57], s[0:1], v[44:45]
	s_mov_b32 s19, 0x3fe9e377
	v_fmac_f64_e32 v[74:75], s[0:1], v[44:45]
	v_fmac_f64_e32 v[62:63], s[10:11], v[60:61]
	v_mul_f64 v[44:45], v[56:57], s[12:13]
	v_mul_f64 v[76:77], v[64:65], s[10:11]
	;; [unrolled: 1-line block ×3, first 2 shown]
	v_fmac_f64_e32 v[62:63], s[0:1], v[54:55]
	v_fmac_f64_e32 v[44:45], s[18:19], v[64:65]
	;; [unrolled: 1-line block ×3, first 2 shown]
	v_mul_f64 v[56:57], v[58:59], s[0:1]
	v_mul_f64 v[110:111], v[58:59], s[4:5]
	v_fma_f64 v[64:65], v[74:75], s[12:13], -v[52:53]
	v_mul_f64 v[52:53], v[74:75], s[18:19]
	v_fmac_f64_e32 v[56:57], s[14:15], v[62:63]
	v_fmac_f64_e32 v[110:111], s[0:1], v[62:63]
	v_fma_f64 v[112:113], v[50:51], s[10:11], -v[52:53]
	v_add_f64 v[52:53], v[48:49], v[72:73]
	v_add_f64 v[62:63], v[40:41], v[80:81]
	v_add_f64 v[58:59], v[72:73], -v[48:49]
	v_add_f64 v[48:49], v[40:41], -v[80:81]
	v_mul_u32_u24_e32 v40, 10, v86
	v_add_f64 v[54:55], v[46:47], v[44:45]
	v_add_f64 v[44:45], v[46:47], -v[44:45]
	v_add_f64 v[46:47], v[68:69], -v[56:57]
	v_add_f64 v[60:61], v[68:69], v[56:57]
	v_add_f64 v[56:57], v[82:83], v[64:65]
	v_add_f64 v[50:51], v[82:83], -v[64:65]
	v_add_f64 v[70:71], v[42:43], v[126:127]
	v_add_f64 v[64:65], v[42:43], -v[126:127]
	v_lshl_add_u32 v95, v40, 3, 0
	s_waitcnt vmcnt(5)
	v_add_f64 v[40:41], v[12:13], -v[8:9]
	s_waitcnt vmcnt(1)
	v_add_f64 v[42:43], v[28:29], -v[32:33]
	ds_write_b128 v95, v[52:55]
	ds_write_b128 v95, v[60:63] offset:16
	ds_write_b128 v95, v[56:59] offset:32
	v_add_f64 v[52:53], v[42:43], v[40:41]
	v_add_f64 v[40:41], v[0:1], v[12:13]
	;; [unrolled: 1-line block ×5, first 2 shown]
	v_add_f64 v[40:41], v[36:37], -v[20:21]
	s_waitcnt vmcnt(0)
	v_add_f64 v[42:43], v[24:25], -v[16:17]
	ds_write_b128 v95, v[44:47] offset:48
	v_add_f64 v[44:45], v[42:43], v[40:41]
	v_add_f64 v[40:41], v[8:9], v[32:33]
	v_fma_f64 v[46:47], -0.5, v[40:41], v[0:1]
	v_add_f64 v[40:41], v[38:39], -v[22:23]
	v_add_f64 v[42:43], v[26:27], -v[18:19]
	ds_write_b128 v95, v[48:51] offset:64
	v_add_f64 v[48:49], v[42:43], v[40:41]
	v_add_f64 v[40:41], v[36:37], v[4:5]
	v_add_f64 v[40:41], v[20:21], v[40:41]
	v_add_f64 v[40:41], v[16:17], v[40:41]
	v_add_f64 v[60:61], v[24:25], v[40:41]
	v_add_f64 v[40:41], v[16:17], v[20:21]
	v_fma_f64 v[126:127], -0.5, v[40:41], v[4:5]
	v_add_f64 v[62:63], v[38:39], -v[26:27]
	v_add_f64 v[40:41], v[18:19], v[22:23]
	v_add_f64 v[68:69], v[78:79], v[110:111]
	v_add_f64 v[74:75], v[78:79], -v[110:111]
	v_add_f64 v[72:73], v[108:109], -v[76:77]
	v_add_f64 v[82:83], v[108:109], v[76:77]
	v_add_f64 v[80:81], v[146:147], v[66:67]
	v_add_f64 v[78:79], v[66:67], -v[146:147]
	v_add_f64 v[76:77], v[106:107], v[112:113]
	v_add_f64 v[66:67], v[106:107], -v[112:113]
	v_fma_f64 v[128:129], s[14:15], v[62:63], v[126:127]
	v_add_f64 v[106:107], v[22:23], -v[18:19]
	v_fma_f64 v[130:131], -0.5, v[40:41], v[6:7]
	v_add_f64 v[108:109], v[36:37], -v[24:25]
	v_add_f64 v[50:51], v[14:15], -v[30:31]
	v_fmac_f64_e32 v[128:129], s[12:13], v[106:107]
	v_fma_f64 v[132:133], s[4:5], v[108:109], v[130:131]
	v_add_f64 v[110:111], v[20:21], -v[16:17]
	v_fma_f64 v[56:57], s[14:15], v[50:51], v[46:47]
	v_add_f64 v[58:59], v[10:11], -v[34:35]
	v_fmac_f64_e32 v[128:129], s[0:1], v[44:45]
	v_fmac_f64_e32 v[132:133], s[10:11], v[110:111]
	;; [unrolled: 1-line block ×4, first 2 shown]
	v_mul_f64 v[112:113], v[128:129], s[18:19]
	v_fmac_f64_e32 v[56:57], s[0:1], v[52:53]
	v_fmac_f64_e32 v[112:113], s[12:13], v[132:133]
	v_mul_i32_i24_e32 v87, 10, v90
	v_add_f64 v[40:41], v[54:55], v[60:61]
	v_add_f64 v[42:43], v[56:57], v[112:113]
	v_lshl_add_u32 v116, v87, 3, 0
	ds_write_b128 v116, v[40:43]
	v_add_f64 v[40:41], v[28:29], v[12:13]
	v_fmac_f64_e32 v[0:1], -0.5, v[40:41]
	v_add_f64 v[40:41], v[8:9], -v[12:13]
	v_add_f64 v[42:43], v[32:33], -v[28:29]
	v_add_f64 v[40:41], v[42:43], v[40:41]
	v_fma_f64 v[42:43], s[4:5], v[58:59], v[0:1]
	v_fmac_f64_e32 v[0:1], s[14:15], v[58:59]
	v_fmac_f64_e32 v[42:43], s[12:13], v[50:51]
	v_fmac_f64_e32 v[0:1], s[10:11], v[50:51]
	v_fmac_f64_e32 v[42:43], s[0:1], v[40:41]
	v_fmac_f64_e32 v[0:1], s[0:1], v[40:41]
	v_add_f64 v[40:41], v[36:37], v[24:25]
	v_fmac_f64_e32 v[4:5], -0.5, v[40:41]
	v_add_f64 v[20:21], v[20:21], -v[36:37]
	v_add_f64 v[16:17], v[16:17], -v[24:25]
	v_add_f64 v[16:17], v[16:17], v[20:21]
	v_fma_f64 v[20:21], s[4:5], v[106:107], v[4:5]
	v_fmac_f64_e32 v[4:5], s[14:15], v[106:107]
	v_fmac_f64_e32 v[20:21], s[12:13], v[62:63]
	;; [unrolled: 1-line block ×3, first 2 shown]
	v_add_f64 v[24:25], v[38:39], v[26:27]
	v_fmac_f64_e32 v[20:21], s[0:1], v[16:17]
	v_fmac_f64_e32 v[4:5], s[0:1], v[16:17]
	v_add_f64 v[16:17], v[38:39], v[6:7]
	v_fmac_f64_e32 v[6:7], -0.5, v[24:25]
	v_add_f64 v[24:25], v[22:23], -v[38:39]
	v_add_f64 v[36:37], v[18:19], -v[26:27]
	v_fma_f64 v[134:135], s[14:15], v[110:111], v[6:7]
	v_fmac_f64_e32 v[6:7], s[4:5], v[110:111]
	v_add_f64 v[24:25], v[36:37], v[24:25]
	v_fmac_f64_e32 v[134:135], s[10:11], v[108:109]
	v_fmac_f64_e32 v[6:7], s[12:13], v[108:109]
	;; [unrolled: 1-line block ×4, first 2 shown]
	v_mul_f64 v[24:25], v[20:21], s[0:1]
	v_fmac_f64_e32 v[24:25], s[14:15], v[134:135]
	v_add_f64 v[38:39], v[42:43], -v[24:25]
	v_add_f64 v[40:41], v[42:43], v[24:25]
	v_mul_f64 v[24:25], v[4:5], s[0:1]
	v_fmac_f64_e32 v[126:127], s[4:5], v[62:63]
	v_fma_f64 v[24:25], v[6:7], s[14:15], -v[24:25]
	v_fmac_f64_e32 v[126:127], s[10:11], v[106:107]
	v_fmac_f64_e32 v[130:131], s[14:15], v[108:109]
	v_add_f64 v[42:43], v[0:1], v[24:25]
	v_fmac_f64_e32 v[46:47], s[4:5], v[50:51]
	v_fmac_f64_e32 v[126:127], s[0:1], v[44:45]
	;; [unrolled: 1-line block ×3, first 2 shown]
	ds_write_b128 v116, v[40:43] offset:16
	v_fmac_f64_e32 v[46:47], s[10:11], v[58:59]
	v_fmac_f64_e32 v[130:131], s[0:1], v[48:49]
	v_mul_f64 v[40:41], v[126:127], s[18:19]
	v_fmac_f64_e32 v[46:47], s[0:1], v[52:53]
	v_fma_f64 v[44:45], v[130:131], s[12:13], -v[40:41]
	v_add_f64 v[36:37], v[56:57], -v[112:113]
	v_add_f64 v[42:43], v[54:55], -v[60:61]
	v_add_f64 v[40:41], v[46:47], v[44:45]
	s_movk_i32 s20, 0xffb8
	ds_write_b128 v116, v[40:43] offset:32
	ds_write_b128 v116, v[36:39] offset:48
	v_add_f64 v[38:39], v[46:47], -v[44:45]
	v_add_f64 v[36:37], v[0:1], -v[24:25]
	v_mad_i32_i24 v117, v86, s20, v95
	ds_write_b128 v116, v[36:39] offset:64
	s_load_dwordx2 s[2:3], s[2:3], 0x0
	s_waitcnt lgkmcnt(0)
	s_barrier
	v_lshl_add_u32 v87, v97, 3, 0
	v_lshl_add_u32 v91, v92, 3, 0
	;; [unrolled: 1-line block ×4, first 2 shown]
	v_add_u32_e32 v123, 0x3000, v117
	v_add_u32_e32 v122, 0x3c00, v117
	;; [unrolled: 1-line block ×5, first 2 shown]
	v_mad_i32_i24 v93, v90, s20, v116
	v_add_u32_e32 v124, 0x100, v117
	ds_read_b64 v[106:107], v117
	ds_read_b64 v[114:115], v87
	;; [unrolled: 1-line block ×6, first 2 shown]
	ds_read2_b64 v[52:55], v123 offset0:64 offset1:224
	ds_read2_b64 v[48:51], v122 offset1:160
	ds_read2_b64 v[44:47], v121 offset0:64 offset1:224
	ds_read2_b64 v[40:43], v120 offset1:160
	ds_read2_b64 v[36:39], v105 offset0:64 offset1:224
	ds_read2st64_b64 v[60:63], v124 offset0:7 offset1:12
	ds_read2st64_b64 v[56:59], v124 offset0:17 offset1:22
	s_waitcnt lgkmcnt(0)
	s_barrier
	ds_write_b128 v95, v[80:83]
	ds_write_b128 v95, v[68:71] offset:16
	ds_write_b128 v95, v[76:79] offset:32
	;; [unrolled: 1-line block ×4, first 2 shown]
	v_add_f64 v[64:65], v[10:11], v[34:35]
	v_add_f64 v[16:17], v[22:23], v[16:17]
	;; [unrolled: 1-line block ×3, first 2 shown]
	v_add_f64 v[12:13], v[12:13], -v[28:29]
	v_add_f64 v[16:17], v[18:19], v[16:17]
	v_fma_f64 v[22:23], -0.5, v[64:65], v[2:3]
	v_add_f64 v[0:1], v[10:11], v[0:1]
	v_add_f64 v[8:9], v[8:9], -v[32:33]
	v_add_f64 v[32:33], v[14:15], -v[10:11]
	v_add_f64 v[10:11], v[10:11], -v[14:15]
	v_add_f64 v[14:15], v[30:31], v[14:15]
	v_add_f64 v[28:29], v[30:31], -v[34:35]
	v_add_f64 v[18:19], v[26:27], v[16:17]
	v_mul_f64 v[6:7], v[6:7], s[0:1]
	v_fma_f64 v[16:17], s[4:5], v[12:13], v[22:23]
	v_fmac_f64_e32 v[22:23], s[14:15], v[12:13]
	v_add_f64 v[0:1], v[34:35], v[0:1]
	v_add_f64 v[34:35], v[34:35], -v[30:31]
	v_fma_f64 v[6:7], v[4:5], s[4:5], -v[6:7]
	v_add_f64 v[4:5], v[28:29], v[32:33]
	v_fmac_f64_e32 v[16:17], s[10:11], v[8:9]
	v_fmac_f64_e32 v[22:23], s[12:13], v[8:9]
	v_fmac_f64_e32 v[2:3], -0.5, v[14:15]
	v_add_f64 v[0:1], v[30:31], v[0:1]
	v_fmac_f64_e32 v[16:17], s[0:1], v[4:5]
	v_fmac_f64_e32 v[22:23], s[0:1], v[4:5]
	v_add_f64 v[4:5], v[34:35], v[10:11]
	v_fma_f64 v[10:11], s[14:15], v[8:9], v[2:3]
	v_fmac_f64_e32 v[2:3], s[4:5], v[8:9]
	s_mov_b32 s20, 0xcccd
	v_fmac_f64_e32 v[10:11], s[10:11], v[12:13]
	v_fmac_f64_e32 v[2:3], s[12:13], v[12:13]
	v_mul_f64 v[12:13], v[20:21], s[4:5]
	v_add_f64 v[14:15], v[0:1], v[18:19]
	v_add_f64 v[20:21], v[0:1], -v[18:19]
	v_mul_u32_u24_sdwa v0, v90, s20 dst_sel:DWORD dst_unused:UNUSED_PAD src0_sel:WORD_0 src1_sel:DWORD
	v_lshrrev_b32_e32 v95, 19, v0
	v_mul_lo_u16_e32 v0, 10, v95
	v_fmac_f64_e32 v[10:11], s[0:1], v[4:5]
	v_fmac_f64_e32 v[2:3], s[0:1], v[4:5]
	v_mul_f64 v[8:9], v[128:129], s[10:11]
	v_mul_f64 v[4:5], v[130:131], s[18:19]
	v_sub_u16_e32 v99, v90, v0
	v_fmac_f64_e32 v[8:9], s[18:19], v[132:133]
	v_fmac_f64_e32 v[12:13], s[0:1], v[134:135]
	v_fma_f64 v[26:27], v[126:127], s[10:11], -v[4:5]
	v_mul_u32_u24_e32 v0, 9, v99
	v_add_f64 v[4:5], v[2:3], v[6:7]
	v_add_f64 v[6:7], v[2:3], -v[6:7]
	v_add_f64 v[2:3], v[10:11], v[12:13]
	v_add_f64 v[12:13], v[10:11], -v[12:13]
	v_add_f64 v[10:11], v[16:17], -v[8:9]
	v_add_f64 v[16:17], v[16:17], v[8:9]
	v_add_f64 v[18:19], v[22:23], v[26:27]
	v_lshlrev_b32_e32 v0, 4, v0
	v_add_f64 v[8:9], v[22:23], -v[26:27]
	ds_write_b128 v116, v[14:17]
	ds_write_b128 v116, v[2:5] offset:16
	ds_write_b128 v116, v[18:21] offset:32
	;; [unrolled: 1-line block ×4, first 2 shown]
	s_waitcnt lgkmcnt(0)
	s_barrier
	global_load_dwordx4 v[20:23], v0, s[8:9]
	global_load_dwordx4 v[16:19], v0, s[8:9] offset:16
	global_load_dwordx4 v[64:67], v0, s[8:9] offset:32
	;; [unrolled: 1-line block ×3, first 2 shown]
	s_movk_i32 s20, 0xcd
	v_mul_lo_u16_sdwa v1, v86, s20 dst_sel:DWORD dst_unused:UNUSED_PAD src0_sel:BYTE_0 src1_sel:DWORD
	v_lshrrev_b16_e32 v101, 11, v1
	v_mul_lo_u16_e32 v1, 10, v101
	v_sub_u16_e32 v103, v86, v1
	v_mov_b32_e32 v1, 9
	v_mul_u32_u24_sdwa v1, v103, v1 dst_sel:DWORD dst_unused:UNUSED_PAD src0_sel:BYTE_0 src1_sel:DWORD
	v_lshlrev_b32_e32 v12, 4, v1
	global_load_dwordx4 v[72:75], v12, s[8:9] offset:64
	global_load_dwordx4 v[76:79], v0, s[8:9] offset:64
	;; [unrolled: 1-line block ×10, first 2 shown]
	s_nop 0
	global_load_dwordx4 v[0:3], v12, s[8:9]
	global_load_dwordx4 v[4:7], v12, s[8:9] offset:16
	global_load_dwordx4 v[8:11], v12, s[8:9] offset:32
	ds_read2st64_b64 v[32:35], v124 offset0:7 offset1:12
	global_load_dwordx4 v[12:15], v12, s[8:9] offset:48
	s_waitcnt vmcnt(17) lgkmcnt(0)
	v_mul_f64 v[26:27], v[32:33], v[22:23]
	v_mul_f64 v[30:31], v[60:61], v[22:23]
	v_fma_f64 v[28:29], v[60:61], v[20:21], -v[26:27]
	v_fmac_f64_e32 v[30:31], v[32:33], v[20:21]
	ds_read2st64_b64 v[20:23], v124 offset0:17 offset1:22
	s_waitcnt vmcnt(16)
	v_mul_f64 v[26:27], v[34:35], v[18:19]
	v_fma_f64 v[60:61], v[62:63], v[16:17], -v[26:27]
	v_mul_f64 v[32:33], v[62:63], v[18:19]
	s_waitcnt vmcnt(15)
	v_mul_f64 v[26:27], v[56:57], v[66:67]
	v_fmac_f64_e32 v[32:33], v[34:35], v[16:17]
	s_waitcnt lgkmcnt(0)
	v_mul_f64 v[16:17], v[20:21], v[66:67]
	v_fmac_f64_e32 v[26:27], v[20:21], v[64:65]
	ds_read2_b64 v[18:21], v123 offset0:64 offset1:224
	v_fma_f64 v[62:63], v[56:57], v[64:65], -v[16:17]
	s_waitcnt vmcnt(14)
	v_mul_f64 v[16:17], v[22:23], v[70:71]
	v_mul_f64 v[34:35], v[58:59], v[70:71]
	v_fma_f64 v[56:57], v[58:59], v[68:69], -v[16:17]
	v_fmac_f64_e32 v[34:35], v[22:23], v[68:69]
	ds_read2_b64 v[66:69], v122 offset1:160
	s_waitcnt vmcnt(13) lgkmcnt(1)
	v_mul_f64 v[16:17], v[18:19], v[74:75]
	v_fma_f64 v[70:71], v[52:53], v[72:73], -v[16:17]
	v_mul_f64 v[16:17], v[52:53], v[74:75]
	v_fmac_f64_e32 v[16:17], v[18:19], v[72:73]
	s_waitcnt vmcnt(12)
	v_mul_f64 v[18:19], v[20:21], v[78:79]
	v_mul_f64 v[52:53], v[54:55], v[78:79]
	v_fma_f64 v[64:65], v[54:55], v[76:77], -v[18:19]
	v_fmac_f64_e32 v[52:53], v[20:21], v[76:77]
	ds_read2_b64 v[74:77], v121 offset0:64 offset1:224
	s_waitcnt vmcnt(11) lgkmcnt(1)
	v_mul_f64 v[18:19], v[66:67], v[82:83]
	v_mul_f64 v[58:59], v[48:49], v[82:83]
	v_fma_f64 v[18:19], v[48:49], v[80:81], -v[18:19]
	v_fmac_f64_e32 v[58:59], v[66:67], v[80:81]
	ds_read2_b64 v[78:81], v120 offset1:160
	s_waitcnt vmcnt(10)
	v_mul_f64 v[20:21], v[68:69], v[128:129]
	v_fma_f64 v[54:55], v[50:51], v[126:127], -v[20:21]
	s_waitcnt vmcnt(9) lgkmcnt(1)
	v_mul_f64 v[20:21], v[74:75], v[132:133]
	v_mul_f64 v[48:49], v[50:51], v[128:129]
	v_fma_f64 v[72:73], v[44:45], v[130:131], -v[20:21]
	v_mul_f64 v[20:21], v[44:45], v[132:133]
	s_waitcnt vmcnt(8)
	v_mul_f64 v[22:23], v[76:77], v[136:137]
	v_mul_f64 v[44:45], v[46:47], v[136:137]
	s_waitcnt vmcnt(7)
	v_mul_f64 v[50:51], v[40:41], v[140:141]
	v_fma_f64 v[66:67], v[46:47], v[134:135], -v[22:23]
	v_fmac_f64_e32 v[44:45], v[76:77], v[134:135]
	s_waitcnt lgkmcnt(0)
	v_mul_f64 v[22:23], v[78:79], v[140:141]
	v_fmac_f64_e32 v[50:51], v[78:79], v[138:139]
	ds_read2_b64 v[76:79], v105 offset0:64 offset1:224
	v_fma_f64 v[22:23], v[40:41], v[138:139], -v[22:23]
	s_waitcnt vmcnt(6)
	v_mul_f64 v[40:41], v[80:81], v[144:145]
	v_fma_f64 v[46:47], v[42:43], v[142:143], -v[40:41]
	v_mul_f64 v[40:41], v[42:43], v[144:145]
	s_waitcnt vmcnt(5) lgkmcnt(0)
	v_mul_f64 v[42:43], v[76:77], v[148:149]
	v_fmac_f64_e32 v[20:21], v[74:75], v[130:131]
	v_fma_f64 v[74:75], v[36:37], v[146:147], -v[42:43]
	v_mul_f64 v[42:43], v[36:37], v[148:149]
	v_fmac_f64_e32 v[42:43], v[76:77], v[146:147]
	ds_read_b64 v[76:77], v87
	s_waitcnt vmcnt(4)
	v_mul_f64 v[36:37], v[78:79], v[152:153]
	v_fmac_f64_e32 v[48:49], v[68:69], v[126:127]
	v_fma_f64 v[68:69], v[38:39], v[150:151], -v[36:37]
	v_mul_f64 v[36:37], v[38:39], v[152:153]
	v_fmac_f64_e32 v[40:41], v[80:81], v[142:143]
	v_fmac_f64_e32 v[36:37], v[78:79], v[150:151]
	ds_read_b64 v[78:79], v91
	ds_read_b64 v[38:39], v119
	ds_read_b64 v[80:81], v117
	s_waitcnt vmcnt(3) lgkmcnt(3)
	v_mul_f64 v[82:83], v[76:77], v[2:3]
	v_fma_f64 v[82:83], v[114:115], v[0:1], -v[82:83]
	v_mul_f64 v[114:115], v[114:115], v[2:3]
	v_fmac_f64_e32 v[114:115], v[76:77], v[0:1]
	s_waitcnt vmcnt(2) lgkmcnt(2)
	v_mul_f64 v[0:1], v[78:79], v[6:7]
	v_mul_f64 v[76:77], v[112:113], v[6:7]
	v_fma_f64 v[0:1], v[112:113], v[4:5], -v[0:1]
	v_fmac_f64_e32 v[76:77], v[78:79], v[4:5]
	ds_read_b64 v[4:5], v118
	s_waitcnt vmcnt(1) lgkmcnt(2)
	v_mul_f64 v[2:3], v[38:39], v[10:11]
	v_mul_f64 v[6:7], v[110:111], v[10:11]
	v_fma_f64 v[2:3], v[110:111], v[8:9], -v[2:3]
	v_fmac_f64_e32 v[6:7], v[38:39], v[8:9]
	ds_read_b64 v[38:39], v93
	s_waitcnt vmcnt(0) lgkmcnt(1)
	v_mul_f64 v[8:9], v[4:5], v[14:15]
	v_fma_f64 v[8:9], v[108:109], v[12:13], -v[8:9]
	v_mul_f64 v[78:79], v[108:109], v[14:15]
	v_add_f64 v[108:109], v[8:9], v[18:19]
	v_fmac_f64_e32 v[78:79], v[4:5], v[12:13]
	v_add_f64 v[4:5], v[0:1], -v[8:9]
	v_add_f64 v[10:11], v[22:23], -v[18:19]
	v_fma_f64 v[112:113], -0.5, v[108:109], v[106:107]
	v_add_f64 v[108:109], v[82:83], v[2:3]
	v_add_f64 v[4:5], v[4:5], v[10:11]
	v_add_f64 v[10:11], v[2:3], -v[70:71]
	v_add_f64 v[12:13], v[74:75], -v[72:73]
	v_add_f64 v[108:109], v[108:109], v[70:71]
	v_add_f64 v[10:11], v[10:11], v[12:13]
	v_add_f64 v[12:13], v[6:7], -v[16:17]
	v_add_f64 v[14:15], v[42:43], -v[20:21]
	v_add_f64 v[108:109], v[108:109], v[72:73]
	v_add_f64 v[110:111], v[16:17], v[20:21]
	;; [unrolled: 1-line block ×3, first 2 shown]
	v_mov_b32_e32 v14, 3
	v_add_f64 v[126:127], v[108:109], v[74:75]
	v_add_f64 v[108:109], v[70:71], v[72:73]
	v_fma_f64 v[110:111], -0.5, v[110:111], v[114:115]
	v_add_f64 v[134:135], v[2:3], -v[74:75]
	v_lshlrev_b32_sdwa v14, v14, v103 dst_sel:DWORD dst_unused:UNUSED_PAD src0_sel:DWORD src1_sel:BYTE_0
	v_mul_u32_u24_e32 v15, 0x320, v101
	v_fma_f64 v[108:109], -0.5, v[108:109], v[82:83]
	v_add_f64 v[128:129], v[6:7], -v[42:43]
	v_fma_f64 v[136:137], s[4:5], v[134:135], v[110:111]
	v_add_f64 v[138:139], v[70:71], -v[72:73]
	v_add3_u32 v101, 0, v15, v14
	v_add_f64 v[14:15], v[106:107], v[0:1]
	v_add_f64 v[120:121], v[76:77], -v[50:51]
	v_fma_f64 v[130:131], s[14:15], v[128:129], v[108:109]
	v_add_f64 v[132:133], v[16:17], -v[20:21]
	v_fmac_f64_e32 v[136:137], s[10:11], v[138:139]
	v_add_f64 v[14:15], v[14:15], v[8:9]
	v_fma_f64 v[122:123], s[14:15], v[120:121], v[112:113]
	v_add_f64 v[124:125], v[78:79], -v[58:59]
	v_fmac_f64_e32 v[130:131], s[12:13], v[132:133]
	v_fmac_f64_e32 v[136:137], s[0:1], v[12:13]
	v_add_f64 v[14:15], v[14:15], v[18:19]
	v_fmac_f64_e32 v[122:123], s[12:13], v[124:125]
	v_fmac_f64_e32 v[130:131], s[0:1], v[10:11]
	v_mul_f64 v[140:141], v[136:137], s[12:13]
	v_add_f64 v[14:15], v[14:15], v[22:23]
	v_fmac_f64_e32 v[122:123], s[0:1], v[4:5]
	v_fmac_f64_e32 v[140:141], s[18:19], v[130:131]
	v_add_f64 v[142:143], v[14:15], v[126:127]
	v_add_f64 v[144:145], v[122:123], v[140:141]
	s_waitcnt lgkmcnt(0)
	s_barrier
	ds_write2_b64 v101, v[142:143], v[144:145] offset1:10
	v_add_f64 v[142:143], v[0:1], v[22:23]
	v_fmac_f64_e32 v[106:107], -0.5, v[142:143]
	v_add_f64 v[142:143], v[8:9], -v[0:1]
	v_add_f64 v[144:145], v[18:19], -v[22:23]
	v_add_f64 v[142:143], v[142:143], v[144:145]
	v_fma_f64 v[144:145], s[4:5], v[124:125], v[106:107]
	v_fmac_f64_e32 v[106:107], s[14:15], v[124:125]
	v_fmac_f64_e32 v[144:145], s[12:13], v[120:121]
	;; [unrolled: 1-line block ×5, first 2 shown]
	v_add_f64 v[142:143], v[2:3], v[74:75]
	v_fmac_f64_e32 v[82:83], -0.5, v[142:143]
	v_add_f64 v[2:3], v[70:71], -v[2:3]
	v_add_f64 v[70:71], v[72:73], -v[74:75]
	v_fma_f64 v[142:143], s[4:5], v[132:133], v[82:83]
	v_fmac_f64_e32 v[82:83], s[14:15], v[132:133]
	v_add_f64 v[2:3], v[2:3], v[70:71]
	v_fmac_f64_e32 v[142:143], s[12:13], v[128:129]
	v_fmac_f64_e32 v[82:83], s[10:11], v[128:129]
	v_add_f64 v[70:71], v[6:7], v[42:43]
	v_fmac_f64_e32 v[142:143], s[0:1], v[2:3]
	v_fmac_f64_e32 v[82:83], s[0:1], v[2:3]
	v_add_f64 v[2:3], v[114:115], v[6:7]
	v_fmac_f64_e32 v[114:115], -0.5, v[70:71]
	v_fmac_f64_e32 v[108:109], s[4:5], v[128:129]
	v_add_f64 v[6:7], v[16:17], -v[6:7]
	v_add_f64 v[70:71], v[20:21], -v[42:43]
	v_fma_f64 v[146:147], s[14:15], v[138:139], v[114:115]
	v_fmac_f64_e32 v[108:109], s[10:11], v[132:133]
	v_fmac_f64_e32 v[110:111], s[14:15], v[134:135]
	v_add_f64 v[6:7], v[6:7], v[70:71]
	v_fmac_f64_e32 v[146:147], s[10:11], v[134:135]
	v_fmac_f64_e32 v[114:115], s[4:5], v[138:139]
	;; [unrolled: 1-line block ×9, first 2 shown]
	v_mul_f64 v[10:11], v[108:109], s[18:19]
	v_fmac_f64_e32 v[114:115], s[0:1], v[6:7]
	v_mul_f64 v[6:7], v[146:147], s[14:15]
	v_fmac_f64_e32 v[112:113], s[0:1], v[4:5]
	v_fma_f64 v[10:11], v[110:111], s[12:13], -v[10:11]
	v_fmac_f64_e32 v[6:7], s[0:1], v[142:143]
	v_mul_f64 v[70:71], v[82:83], s[0:1]
	v_add_f64 v[4:5], v[14:15], -v[126:127]
	v_add_f64 v[12:13], v[112:113], v[10:11]
	v_fma_f64 v[70:71], v[114:115], s[14:15], -v[70:71]
	v_add_f64 v[72:73], v[144:145], v[6:7]
	ds_write2_b64 v101, v[12:13], v[4:5] offset0:40 offset1:50
	v_add_f64 v[4:5], v[122:123], -v[140:141]
	v_add_f64 v[6:7], v[144:145], -v[6:7]
	ds_write2_b64 v101, v[4:5], v[6:7] offset0:60 offset1:70
	v_add_f64 v[4:5], v[106:107], -v[70:71]
	v_add_f64 v[6:7], v[112:113], -v[10:11]
	ds_write2_b64 v101, v[4:5], v[6:7] offset0:80 offset1:90
	v_add_f64 v[4:5], v[60:61], -v[56:57]
	v_add_f64 v[6:7], v[46:47], -v[54:55]
	v_add_f64 v[4:5], v[4:5], v[6:7]
	v_add_f64 v[6:7], v[62:63], -v[64:65]
	v_add_f64 v[10:11], v[68:69], -v[66:67]
	v_add_f64 v[126:127], v[52:53], v[44:45]
	v_add_f64 v[6:7], v[6:7], v[10:11]
	v_add_f64 v[10:11], v[26:27], -v[52:53]
	v_add_f64 v[12:13], v[36:37], -v[44:45]
	v_add_f64 v[112:113], v[64:65], v[66:67]
	v_fma_f64 v[126:127], -0.5, v[126:127], v[30:31]
	v_add_f64 v[128:129], v[62:63], -v[68:69]
	v_add_f64 v[10:11], v[10:11], v[12:13]
	v_mul_u32_u24_e32 v12, 0x320, v95
	v_lshlrev_b32_e32 v13, 3, v99
	v_add_f64 v[14:15], v[56:57], v[54:55]
	v_fma_f64 v[112:113], -0.5, v[112:113], v[28:29]
	v_add_f64 v[120:121], v[26:27], -v[36:37]
	v_fma_f64 v[132:133], s[4:5], v[128:129], v[126:127]
	v_add_f64 v[134:135], v[64:65], -v[66:67]
	v_add_f64 v[74:75], v[106:107], v[70:71]
	v_add3_u32 v103, 0, v12, v13
	v_add_f64 v[12:13], v[24:25], v[60:61]
	v_fma_f64 v[14:15], -0.5, v[14:15], v[24:25]
	v_add_f64 v[70:71], v[32:33], -v[40:41]
	v_add_f64 v[106:107], v[28:29], v[62:63]
	v_fma_f64 v[122:123], s[14:15], v[120:121], v[112:113]
	v_add_f64 v[124:125], v[52:53], -v[44:45]
	v_fmac_f64_e32 v[132:133], s[10:11], v[134:135]
	ds_write2_b64 v101, v[72:73], v[74:75] offset0:20 offset1:30
	v_add_f64 v[12:13], v[12:13], v[56:57]
	v_fma_f64 v[72:73], s[14:15], v[70:71], v[14:15]
	v_add_f64 v[74:75], v[34:35], -v[48:49]
	v_add_f64 v[106:107], v[106:107], v[64:65]
	v_fmac_f64_e32 v[122:123], s[12:13], v[124:125]
	v_fmac_f64_e32 v[132:133], s[0:1], v[10:11]
	v_add_f64 v[12:13], v[12:13], v[54:55]
	v_fmac_f64_e32 v[72:73], s[12:13], v[74:75]
	v_add_f64 v[106:107], v[106:107], v[66:67]
	v_fmac_f64_e32 v[122:123], s[0:1], v[6:7]
	v_mul_f64 v[138:139], v[132:133], s[12:13]
	v_add_f64 v[12:13], v[12:13], v[46:47]
	v_fmac_f64_e32 v[72:73], s[0:1], v[4:5]
	v_add_f64 v[106:107], v[106:107], v[68:69]
	v_fmac_f64_e32 v[138:139], s[18:19], v[122:123]
	v_add_f64 v[140:141], v[12:13], v[106:107]
	v_add_f64 v[144:145], v[72:73], v[138:139]
	ds_write2_b64 v103, v[140:141], v[144:145] offset1:10
	v_add_f64 v[140:141], v[60:61], v[46:47]
	v_fmac_f64_e32 v[24:25], -0.5, v[140:141]
	v_add_f64 v[140:141], v[56:57], -v[60:61]
	v_add_f64 v[144:145], v[54:55], -v[46:47]
	v_add_f64 v[140:141], v[140:141], v[144:145]
	v_fma_f64 v[144:145], s[4:5], v[74:75], v[24:25]
	v_fmac_f64_e32 v[24:25], s[14:15], v[74:75]
	v_fmac_f64_e32 v[144:145], s[12:13], v[70:71]
	;; [unrolled: 1-line block ×5, first 2 shown]
	v_add_f64 v[140:141], v[62:63], v[68:69]
	v_fmac_f64_e32 v[28:29], -0.5, v[140:141]
	v_add_f64 v[62:63], v[64:65], -v[62:63]
	v_add_f64 v[64:65], v[66:67], -v[68:69]
	v_fma_f64 v[140:141], s[4:5], v[124:125], v[28:29]
	v_fmac_f64_e32 v[28:29], s[14:15], v[124:125]
	v_add_f64 v[62:63], v[62:63], v[64:65]
	v_fmac_f64_e32 v[140:141], s[12:13], v[120:121]
	v_fmac_f64_e32 v[28:29], s[10:11], v[120:121]
	v_fmac_f64_e32 v[140:141], s[0:1], v[62:63]
	v_fmac_f64_e32 v[28:29], s[0:1], v[62:63]
	v_add_f64 v[62:63], v[26:27], v[36:37]
	v_add_f64 v[148:149], v[30:31], v[26:27]
	v_fmac_f64_e32 v[30:31], -0.5, v[62:63]
	v_fmac_f64_e32 v[112:113], s[4:5], v[120:121]
	v_add_f64 v[26:27], v[52:53], -v[26:27]
	v_add_f64 v[62:63], v[44:45], -v[36:37]
	v_fma_f64 v[150:151], s[14:15], v[134:135], v[30:31]
	v_fmac_f64_e32 v[112:113], s[10:11], v[124:125]
	v_fmac_f64_e32 v[126:127], s[14:15], v[128:129]
	v_add_f64 v[26:27], v[26:27], v[62:63]
	v_fmac_f64_e32 v[150:151], s[10:11], v[128:129]
	v_fmac_f64_e32 v[30:31], s[4:5], v[134:135]
	;; [unrolled: 1-line block ×9, first 2 shown]
	v_mul_f64 v[6:7], v[112:113], s[18:19]
	v_fmac_f64_e32 v[30:31], s[0:1], v[26:27]
	v_mul_f64 v[26:27], v[150:151], s[14:15]
	v_fmac_f64_e32 v[14:15], s[0:1], v[4:5]
	v_fma_f64 v[6:7], v[126:127], s[12:13], -v[6:7]
	v_fmac_f64_e32 v[26:27], s[0:1], v[140:141]
	v_mul_f64 v[62:63], v[28:29], s[0:1]
	v_add_f64 v[4:5], v[12:13], -v[106:107]
	v_add_f64 v[10:11], v[14:15], v[6:7]
	v_fma_f64 v[62:63], v[30:31], s[14:15], -v[62:63]
	ds_write2_b64 v103, v[10:11], v[4:5] offset0:40 offset1:50
	v_add_f64 v[4:5], v[72:73], -v[138:139]
	v_add_f64 v[10:11], v[144:145], -v[26:27]
	ds_write2_b64 v103, v[4:5], v[10:11] offset0:60 offset1:70
	v_add_f64 v[4:5], v[24:25], -v[62:63]
	v_add_f64 v[6:7], v[14:15], -v[6:7]
	;; [unrolled: 3-line block ×3, first 2 shown]
	v_add_f64 v[4:5], v[50:51], -v[58:59]
	v_add_f64 v[128:129], v[0:1], v[4:5]
	v_add_f64 v[0:1], v[2:3], v[16:17]
	;; [unrolled: 1-line block ×6, first 2 shown]
	v_mul_f64 v[130:131], v[130:131], s[10:11]
	v_add_f64 v[0:1], v[0:1], v[58:59]
	v_fmac_f64_e32 v[130:131], s[18:19], v[136:137]
	v_add_f64 v[136:137], v[0:1], v[50:51]
	v_add_f64 v[0:1], v[78:79], v[58:59]
	v_fma_f64 v[138:139], -0.5, v[0:1], v[80:81]
	v_add_f64 v[64:65], v[144:145], v[26:27]
	v_add_f64 v[124:125], v[8:9], -v[18:19]
	v_fma_f64 v[144:145], s[4:5], v[120:121], v[138:139]
	v_fmac_f64_e32 v[144:145], s[10:11], v[124:125]
	v_fmac_f64_e32 v[144:145], s[0:1], v[128:129]
	v_add_f64 v[66:67], v[24:25], v[62:63]
	v_add_f64 v[152:153], v[136:137], v[134:135]
	;; [unrolled: 1-line block ×3, first 2 shown]
	ds_write2_b64 v103, v[64:65], v[66:67] offset0:20 offset1:30
	s_waitcnt lgkmcnt(0)
	s_barrier
	v_lshl_add_u32 v75, v100, 3, 0
	v_add_u32_e32 v95, 0x2c00, v117
	v_add_u32_e32 v74, 0x4a00, v117
	;; [unrolled: 1-line block ×5, first 2 shown]
	v_lshl_add_u32 v106, v96, 3, 0
	v_add_u32_e32 v73, 0x4000, v117
	ds_read_b64 v[66:67], v93
	ds_read_b64 v[62:63], v106
	;; [unrolled: 1-line block ×5, first 2 shown]
	ds_read_b64 v[68:69], v117 offset:24320
	ds_read2st64_b64 v[0:3], v117 offset1:15
	ds_read2_b64 v[8:11], v95 offset0:32 offset1:192
	ds_read2_b64 v[24:27], v74 offset0:32 offset1:192
	;; [unrolled: 1-line block ×6, first 2 shown]
	s_waitcnt lgkmcnt(0)
	s_barrier
	ds_write2_b64 v101, v[152:153], v[154:155] offset1:10
	v_add_f64 v[152:153], v[76:77], v[50:51]
	v_fmac_f64_e32 v[80:81], -0.5, v[152:153]
	v_add_f64 v[76:77], v[78:79], -v[76:77]
	v_add_f64 v[50:51], v[58:59], -v[50:51]
	v_fma_f64 v[58:59], s[14:15], v[124:125], v[80:81]
	v_fmac_f64_e32 v[80:81], s[4:5], v[124:125]
	v_add_f64 v[50:51], v[76:77], v[50:51]
	v_fmac_f64_e32 v[58:59], s[10:11], v[120:121]
	v_fmac_f64_e32 v[80:81], s[12:13], v[120:121]
	;; [unrolled: 1-line block ×4, first 2 shown]
	v_mul_f64 v[50:51], v[142:143], s[4:5]
	v_mul_f64 v[76:77], v[114:115], s[0:1]
	v_fmac_f64_e32 v[50:51], s[0:1], v[146:147]
	v_fma_f64 v[76:77], v[82:83], s[4:5], -v[76:77]
	v_add_f64 v[78:79], v[58:59], v[50:51]
	v_add_f64 v[82:83], v[80:81], v[76:77]
	v_fmac_f64_e32 v[138:139], s[14:15], v[120:121]
	ds_write2_b64 v101, v[78:79], v[82:83] offset0:20 offset1:30
	v_fmac_f64_e32 v[138:139], s[12:13], v[124:125]
	v_mul_f64 v[78:79], v[110:111], s[18:19]
	v_fmac_f64_e32 v[138:139], s[0:1], v[128:129]
	v_fma_f64 v[78:79], v[108:109], s[10:11], -v[78:79]
	v_add_f64 v[82:83], v[136:137], -v[134:135]
	v_add_f64 v[108:109], v[138:139], v[78:79]
	ds_write2_b64 v101, v[108:109], v[82:83] offset0:40 offset1:50
	v_add_f64 v[82:83], v[144:145], -v[130:131]
	v_add_f64 v[50:51], v[58:59], -v[50:51]
	ds_write2_b64 v101, v[82:83], v[50:51] offset0:60 offset1:70
	v_add_f64 v[50:51], v[80:81], -v[76:77]
	v_add_f64 v[58:59], v[138:139], -v[78:79]
	ds_write2_b64 v101, v[50:51], v[58:59] offset0:80 offset1:90
	v_add_f64 v[50:51], v[56:57], -v[54:55]
	v_add_f64 v[54:55], v[32:33], -v[34:35]
	v_add_f64 v[56:57], v[40:41], -v[48:49]
	v_add_f64 v[54:55], v[54:55], v[56:57]
	v_add_f64 v[56:57], v[34:35], v[48:49]
	v_add_f64 v[46:47], v[60:61], -v[46:47]
	v_fma_f64 v[56:57], -0.5, v[56:57], v[38:39]
	v_fma_f64 v[58:59], s[4:5], v[46:47], v[56:57]
	v_fmac_f64_e32 v[56:57], s[14:15], v[46:47]
	v_add_f64 v[52:53], v[148:149], v[52:53]
	v_fmac_f64_e32 v[58:59], s[10:11], v[50:51]
	v_fmac_f64_e32 v[56:57], s[12:13], v[50:51]
	v_add_f64 v[44:45], v[52:53], v[44:45]
	v_add_f64 v[52:53], v[38:39], v[32:33]
	v_fmac_f64_e32 v[58:59], s[0:1], v[54:55]
	v_fmac_f64_e32 v[56:57], s[0:1], v[54:55]
	v_add_f64 v[54:55], v[32:33], v[40:41]
	v_add_f64 v[52:53], v[52:53], v[34:35]
	v_fmac_f64_e32 v[38:39], -0.5, v[54:55]
	v_add_f64 v[32:33], v[34:35], -v[32:33]
	v_add_f64 v[34:35], v[48:49], -v[40:41]
	v_add_f64 v[32:33], v[32:33], v[34:35]
	v_fma_f64 v[34:35], s[14:15], v[50:51], v[38:39]
	v_fmac_f64_e32 v[38:39], s[4:5], v[50:51]
	v_fmac_f64_e32 v[34:35], s[10:11], v[46:47]
	;; [unrolled: 1-line block ×3, first 2 shown]
	v_add_f64 v[36:37], v[44:45], v[36:37]
	v_mul_f64 v[44:45], v[122:123], s[10:11]
	v_add_f64 v[52:53], v[52:53], v[48:49]
	v_fmac_f64_e32 v[34:35], s[0:1], v[32:33]
	v_fmac_f64_e32 v[38:39], s[0:1], v[32:33]
	v_mul_f64 v[32:33], v[140:141], s[4:5]
	v_mul_f64 v[30:31], v[30:31], s[0:1]
	v_fmac_f64_e32 v[44:45], s[18:19], v[132:133]
	v_add_f64 v[52:53], v[52:53], v[40:41]
	v_fmac_f64_e32 v[32:33], s[0:1], v[150:151]
	v_fma_f64 v[28:29], v[28:29], s[4:5], -v[30:31]
	v_mul_f64 v[30:31], v[126:127], s[18:19]
	v_add_f64 v[60:61], v[52:53], v[36:37]
	v_add_f64 v[76:77], v[58:59], v[44:45]
	v_fma_f64 v[30:31], v[112:113], s[10:11], -v[30:31]
	v_add_f64 v[40:41], v[58:59], -v[44:45]
	v_add_f64 v[44:45], v[34:35], v[32:33]
	v_add_f64 v[32:33], v[34:35], -v[32:33]
	v_add_f64 v[34:35], v[38:39], v[28:29]
	v_add_f64 v[28:29], v[38:39], -v[28:29]
	s_movk_i32 s0, 0x64
	ds_write2_b64 v103, v[60:61], v[76:77] offset1:10
	v_add_f64 v[36:37], v[52:53], -v[36:37]
	v_add_f64 v[38:39], v[56:57], v[30:31]
	v_add_f64 v[30:31], v[56:57], -v[30:31]
	ds_write2_b64 v103, v[44:45], v[34:35] offset0:20 offset1:30
	ds_write2_b64 v103, v[38:39], v[36:37] offset0:40 offset1:50
	;; [unrolled: 1-line block ×4, first 2 shown]
	v_add_u32_e32 v28, 0xffffff9c, v86
	v_cmp_gt_u32_e64 s[0:1], s0, v86
	v_mov_b32_e32 v45, 0
	v_lshrrev_b16_e32 v32, 2, v90
	v_cndmask_b32_e64 v101, v28, v86, s[0:1]
	v_mul_i32_i24_e32 v44, 3, v101
	v_lshl_add_u64 v[40:41], v[44:45], 4, s[8:9]
	s_waitcnt lgkmcnt(0)
	s_barrier
	global_load_dwordx4 v[28:31], v[40:41], off offset:1472
	v_mul_u32_u24_e32 v32, 0x147b, v32
	v_lshrrev_b32_e32 v44, 17, v32
	v_mul_lo_u16_e32 v32, 0x64, v44
	v_sub_u16_e32 v103, v90, v32
	v_mul_u32_u24_e32 v32, 3, v103
	v_lshlrev_b32_e32 v105, 4, v32
	v_lshrrev_b16_e32 v46, 2, v97
	global_load_dwordx4 v[36:39], v105, s[8:9] offset:1472
	global_load_dwordx4 v[32:35], v105, s[8:9] offset:1456
	v_mul_u32_u24_e32 v46, 0x147b, v46
	v_lshrrev_b32_e32 v148, 17, v46
	v_mul_lo_u16_e32 v46, 0x64, v148
	v_sub_u16_e32 v149, v97, v46
	v_mul_u32_u24_e32 v46, 3, v149
	v_lshlrev_b32_e32 v108, 4, v46
	global_load_dwordx4 v[46:49], v108, s[8:9] offset:1456
	global_load_dwordx4 v[50:53], v108, s[8:9] offset:1440
	v_lshrrev_b16_e32 v54, 2, v96
	v_mul_u32_u24_e32 v54, 0x147b, v54
	v_lshrrev_b32_e32 v150, 17, v54
	v_mul_lo_u16_e32 v54, 0x64, v150
	v_sub_u16_e32 v151, v96, v54
	v_mul_u32_u24_e32 v54, 3, v151
	v_lshlrev_b32_e32 v120, 4, v54
	global_load_dwordx4 v[54:57], v120, s[8:9] offset:1440
	global_load_dwordx4 v[58:61], v108, s[8:9] offset:1472
	;; [unrolled: 1-line block ×3, first 2 shown]
	global_load_dwordx4 v[80:83], v[40:41], off offset:1456
	v_lshrrev_b16_e32 v108, 2, v92
	v_mul_u32_u24_e32 v108, 0x147b, v108
	v_lshrrev_b32_e32 v152, 17, v108
	v_mul_lo_u16_e32 v108, 0x64, v152
	v_sub_u16_e32 v153, v92, v108
	v_mul_u32_u24_e32 v108, 3, v153
	v_lshlrev_b32_e32 v128, 4, v108
	global_load_dwordx4 v[108:111], v128, s[8:9] offset:1440
	global_load_dwordx4 v[112:115], v120, s[8:9] offset:1456
                                        ; kill: killed $vgpr120
	s_nop 0
	global_load_dwordx4 v[120:123], v128, s[8:9] offset:1456
	global_load_dwordx4 v[124:127], v[40:41], off offset:1440
	s_nop 0
	global_load_dwordx4 v[128:131], v128, s[8:9] offset:1472
	s_nop 0
	global_load_dwordx4 v[132:135], v105, s[8:9] offset:1440
	ds_read2_b64 v[136:139], v74 offset0:32 offset1:192
	s_movk_i32 s0, 0x63
	v_cmp_lt_u32_e64 s[0:1], s0, v86
	s_movk_i32 s10, 0xc80
	s_mov_b64 s[4:5], 0x1860
	s_waitcnt vmcnt(14) lgkmcnt(0)
	v_mul_f64 v[40:41], v[136:137], v[30:31]
	v_mul_f64 v[142:143], v[24:25], v[30:31]
	v_fma_f64 v[140:141], v[24:25], v[28:29], -v[40:41]
	v_fmac_f64_e32 v[142:143], v[136:137], v[28:29]
	ds_read2_b64 v[28:31], v72 offset0:32 offset1:192
	s_waitcnt vmcnt(13)
	v_mul_f64 v[24:25], v[138:139], v[38:39]
	v_fma_f64 v[136:137], v[26:27], v[36:37], -v[24:25]
	v_mul_f64 v[144:145], v[26:27], v[38:39]
	s_waitcnt vmcnt(12) lgkmcnt(0)
	v_mul_f64 v[24:25], v[28:29], v[34:35]
	v_fmac_f64_e32 v[144:145], v[138:139], v[36:37]
	v_fma_f64 v[138:139], v[20:21], v[32:33], -v[24:25]
	ds_read2_b64 v[24:27], v99 offset0:32 offset1:192
	v_mul_f64 v[34:35], v[20:21], v[34:35]
	s_waitcnt vmcnt(11)
	v_mul_f64 v[20:21], v[30:31], v[48:49]
	v_fmac_f64_e32 v[34:35], v[28:29], v[32:33]
	v_fma_f64 v[146:147], v[22:23], v[46:47], -v[20:21]
	v_mul_f64 v[28:29], v[22:23], v[48:49]
	s_waitcnt vmcnt(10) lgkmcnt(0)
	v_mul_f64 v[20:21], v[24:25], v[52:53]
	v_fmac_f64_e32 v[28:29], v[30:31], v[46:47]
	v_fma_f64 v[46:47], v[16:17], v[50:51], -v[20:21]
	ds_read2_b64 v[20:23], v107 offset0:32 offset1:192
	v_mul_f64 v[32:33], v[16:17], v[52:53]
	s_waitcnt vmcnt(9)
	v_mul_f64 v[16:17], v[26:27], v[56:57]
	v_fmac_f64_e32 v[32:33], v[24:25], v[50:51]
	;; [unrolled: 11-line block ×3, first 2 shown]
	v_fma_f64 v[20:21], v[14:15], v[76:77], -v[12:13]
	v_mul_f64 v[14:15], v[14:15], v[78:79]
	s_waitcnt vmcnt(6) lgkmcnt(0)
	v_mul_f64 v[12:13], v[18:19], v[82:83]
	v_fmac_f64_e32 v[14:15], v[22:23], v[76:77]
	v_fma_f64 v[22:23], v[10:11], v[80:81], -v[12:13]
	v_mul_f64 v[50:51], v[10:11], v[82:83]
	ds_read2_b64 v[10:13], v73 offset0:32 offset1:192
	v_fmac_f64_e32 v[50:51], v[18:19], v[80:81]
	s_waitcnt vmcnt(5)
	v_mul_f64 v[18:19], v[16:17], v[110:111]
	s_waitcnt vmcnt(4)
	v_mul_f64 v[40:41], v[4:5], v[114:115]
	v_fma_f64 v[18:19], v[8:9], v[108:109], -v[18:19]
	v_mul_f64 v[36:37], v[8:9], v[110:111]
	s_waitcnt lgkmcnt(0)
	v_mul_f64 v[8:9], v[10:11], v[114:115]
	v_fmac_f64_e32 v[40:41], v[10:11], v[112:113]
	ds_read_b64 v[10:11], v75
	ds_read_b64 v[58:59], v91
	ds_read_b64 v[52:53], v117 offset:24320
	v_fma_f64 v[8:9], v[4:5], v[112:113], -v[8:9]
	s_waitcnt vmcnt(3)
	v_mul_f64 v[4:5], v[12:13], v[122:123]
	v_fmac_f64_e32 v[36:37], v[16:17], v[108:109]
	v_fma_f64 v[16:17], v[6:7], v[120:121], -v[4:5]
	v_mul_f64 v[38:39], v[6:7], v[122:123]
	s_waitcnt vmcnt(2) lgkmcnt(2)
	v_mul_f64 v[4:5], v[10:11], v[126:127]
	v_fmac_f64_e32 v[38:39], v[12:13], v[120:121]
	v_fma_f64 v[12:13], v[70:71], v[124:125], -v[4:5]
	ds_read2st64_b64 v[4:7], v117 offset1:15
	ds_read_b64 v[60:61], v87
	v_mul_f64 v[54:55], v[70:71], v[126:127]
	v_fmac_f64_e32 v[54:55], v[10:11], v[124:125]
	s_waitcnt vmcnt(1) lgkmcnt(2)
	v_mul_f64 v[10:11], v[52:53], v[130:131]
	v_fma_f64 v[10:11], v[68:69], v[128:129], -v[10:11]
	v_mul_f64 v[56:57], v[68:69], v[130:131]
	s_waitcnt vmcnt(0)
	v_mul_f64 v[68:69], v[2:3], v[134:135]
	v_fmac_f64_e32 v[56:57], v[52:53], v[128:129]
	s_waitcnt lgkmcnt(1)
	v_mul_f64 v[52:53], v[6:7], v[134:135]
	v_fmac_f64_e32 v[68:69], v[6:7], v[132:133]
	v_mov_b32_e32 v6, 0xc80
	v_cndmask_b32_e64 v6, 0, v6, s[0:1]
	v_lshlrev_b32_e32 v7, 3, v101
	v_fma_f64 v[52:53], v[2:3], v[132:133], -v[52:53]
	v_add_f64 v[2:3], v[0:1], -v[22:23]
	v_add3_u32 v101, 0, v6, v7
	v_add_f64 v[6:7], v[12:13], -v[140:141]
	v_fma_f64 v[0:1], v[0:1], 2.0, -v[2:3]
	v_add_f64 v[22:23], v[54:55], -v[142:143]
	v_fma_f64 v[12:13], v[12:13], 2.0, -v[6:7]
	v_add_f64 v[12:13], v[0:1], -v[12:13]
	v_add_f64 v[70:71], v[2:3], -v[22:23]
	v_fma_f64 v[0:1], v[0:1], 2.0, -v[12:13]
	v_fma_f64 v[2:3], v[2:3], 2.0, -v[70:71]
	ds_read_b64 v[76:77], v93
	ds_read_b64 v[78:79], v106
	s_waitcnt lgkmcnt(0)
	s_barrier
	ds_write2_b64 v101, v[0:1], v[2:3] offset1:100
	v_mul_u32_u24_e32 v0, 0xc80, v44
	v_lshlrev_b32_e32 v1, 3, v103
	v_add3_u32 v44, 0, v0, v1
	v_add_f64 v[0:1], v[66:67], -v[138:139]
	v_add_u32_e32 v105, 0x400, v101
	v_fma_f64 v[2:3], v[66:67], 2.0, -v[0:1]
	v_add_f64 v[66:67], v[52:53], -v[136:137]
	ds_write2_b64 v105, v[12:13], v[70:71] offset0:72 offset1:172
	v_add_f64 v[70:71], v[68:69], -v[144:145]
	v_fma_f64 v[12:13], v[52:53], 2.0, -v[66:67]
	v_add_f64 v[12:13], v[2:3], -v[12:13]
	v_add_f64 v[52:53], v[0:1], -v[70:71]
	v_fma_f64 v[2:3], v[2:3], 2.0, -v[12:13]
	v_fma_f64 v[0:1], v[0:1], 2.0, -v[52:53]
	s_mov_b32 s0, 0x5040100
	ds_write2_b64 v44, v[2:3], v[0:1] offset1:100
	v_add_u32_e32 v103, 0x400, v44
	v_perm_b32 v0, v148, v150, s0
	ds_write2_b64 v103, v[12:13], v[52:53] offset0:72 offset1:172
	v_pk_mul_lo_u16 v52, v0, s10 op_sel_hi:[1,0]
	v_lshlrev_b32_e32 v0, 3, v149
	v_lshrrev_b32_e32 v1, 16, v52
	v_add3_u32 v122, 0, v1, v0
	v_add_f64 v[0:1], v[64:65], -v[146:147]
	v_fma_f64 v[2:3], v[64:65], 2.0, -v[0:1]
	v_add_f64 v[64:65], v[46:47], -v[26:27]
	v_add_f64 v[80:81], v[32:33], -v[48:49]
	v_fma_f64 v[12:13], v[46:47], 2.0, -v[64:65]
	v_add_f64 v[12:13], v[2:3], -v[12:13]
	v_add_f64 v[26:27], v[0:1], -v[80:81]
	v_fma_f64 v[2:3], v[2:3], 2.0, -v[12:13]
	v_fma_f64 v[0:1], v[0:1], 2.0, -v[26:27]
	ds_write2_b64 v122, v[2:3], v[0:1] offset1:100
	v_and_b32_e32 v0, 0xff80, v52
	v_lshlrev_b32_e32 v1, 3, v151
	v_add3_u32 v124, 0, v0, v1
	v_add_f64 v[0:1], v[62:63], -v[8:9]
	v_fma_f64 v[2:3], v[62:63], 2.0, -v[0:1]
	v_add_f64 v[62:63], v[24:25], -v[20:21]
	v_add_u32_e32 v123, 0x400, v122
	v_add_f64 v[82:83], v[30:31], -v[14:15]
	v_fma_f64 v[8:9], v[24:25], 2.0, -v[62:63]
	ds_write2_b64 v123, v[12:13], v[26:27] offset0:72 offset1:172
	v_add_f64 v[8:9], v[2:3], -v[8:9]
	v_add_f64 v[12:13], v[0:1], -v[82:83]
	v_fma_f64 v[2:3], v[2:3], 2.0, -v[8:9]
	v_fma_f64 v[0:1], v[0:1], 2.0, -v[12:13]
	ds_write2_b64 v124, v[2:3], v[0:1] offset1:100
	v_mul_u32_u24_e32 v0, 0xc80, v152
	v_lshlrev_b32_e32 v1, 3, v153
	v_add3_u32 v126, 0, v0, v1
	v_add_f64 v[0:1], v[42:43], -v[16:17]
	v_add_u32_e32 v125, 0x400, v124
	v_fma_f64 v[2:3], v[42:43], 2.0, -v[0:1]
	v_add_f64 v[42:43], v[18:19], -v[10:11]
	ds_write2_b64 v125, v[8:9], v[12:13] offset0:72 offset1:172
	v_add_f64 v[108:109], v[36:37], -v[56:57]
	v_fma_f64 v[8:9], v[18:19], 2.0, -v[42:43]
	v_add_f64 v[8:9], v[2:3], -v[8:9]
	v_add_f64 v[10:11], v[0:1], -v[108:109]
	v_fma_f64 v[2:3], v[2:3], 2.0, -v[8:9]
	v_fma_f64 v[0:1], v[0:1], 2.0, -v[10:11]
	ds_write2_b64 v126, v[2:3], v[0:1] offset1:100
	v_add_f64 v[0:1], v[4:5], -v[50:51]
	v_add_f64 v[34:35], v[76:77], -v[34:35]
	v_fma_f64 v[2:3], v[4:5], 2.0, -v[0:1]
	v_fma_f64 v[4:5], v[54:55], 2.0, -v[22:23]
	v_fma_f64 v[68:69], v[68:69], 2.0, -v[70:71]
	v_fma_f64 v[70:71], v[76:77], 2.0, -v[34:35]
	v_add_f64 v[110:111], v[2:3], -v[4:5]
	v_add_f64 v[114:115], v[0:1], v[6:7]
	v_add_f64 v[68:69], v[70:71], -v[68:69]
	v_add_f64 v[66:67], v[34:35], v[66:67]
	v_add_u32_e32 v127, 0x400, v126
	v_fma_f64 v[112:113], v[2:3], 2.0, -v[110:111]
	v_fma_f64 v[120:121], v[0:1], 2.0, -v[114:115]
	;; [unrolled: 1-line block ×4, first 2 shown]
	v_add_f64 v[28:29], v[60:61], -v[28:29]
	ds_write2_b64 v127, v[8:9], v[10:11] offset0:72 offset1:172
	s_waitcnt lgkmcnt(0)
	s_barrier
	ds_read_b64 v[52:53], v93
	ds_read_b64 v[48:49], v106
	;; [unrolled: 1-line block ×5, first 2 shown]
	ds_read_b64 v[54:55], v117 offset:24320
	ds_read2st64_b64 v[0:3], v117 offset1:15
	ds_read2_b64 v[8:11], v95 offset0:32 offset1:192
	ds_read2_b64 v[24:27], v74 offset0:32 offset1:192
	;; [unrolled: 1-line block ×6, first 2 shown]
	s_waitcnt lgkmcnt(0)
	s_barrier
	ds_write2_b64 v101, v[112:113], v[120:121] offset1:100
	ds_write2_b64 v105, v[110:111], v[114:115] offset0:72 offset1:172
	ds_write2_b64 v44, v[70:71], v[34:35] offset1:100
	ds_write2_b64 v103, v[68:69], v[66:67] offset0:72 offset1:172
	v_fma_f64 v[32:33], v[32:33], 2.0, -v[80:81]
	v_fma_f64 v[34:35], v[60:61], 2.0, -v[28:29]
	v_add_f64 v[32:33], v[34:35], -v[32:33]
	v_add_f64 v[60:61], v[28:29], v[64:65]
	v_fma_f64 v[34:35], v[34:35], 2.0, -v[32:33]
	v_fma_f64 v[28:29], v[28:29], 2.0, -v[60:61]
	ds_write2_b64 v122, v[34:35], v[28:29] offset1:100
	ds_write2_b64 v123, v[32:33], v[60:61] offset0:72 offset1:172
	v_fma_f64 v[28:29], v[30:31], 2.0, -v[82:83]
	v_add_f64 v[30:31], v[78:79], -v[40:41]
	v_fma_f64 v[32:33], v[78:79], 2.0, -v[30:31]
	v_add_f64 v[28:29], v[32:33], -v[28:29]
	v_add_f64 v[34:35], v[30:31], v[62:63]
	v_fma_f64 v[32:33], v[32:33], 2.0, -v[28:29]
	v_fma_f64 v[30:31], v[30:31], 2.0, -v[34:35]
	ds_write2_b64 v124, v[32:33], v[30:31] offset1:100
	v_add_f64 v[30:31], v[58:59], -v[38:39]
	v_fma_f64 v[32:33], v[58:59], 2.0, -v[30:31]
	v_fma_f64 v[36:37], v[36:37], 2.0, -v[108:109]
	v_add_f64 v[36:37], v[32:33], -v[36:37]
	v_add_f64 v[38:39], v[30:31], v[42:43]
	v_fma_f64 v[32:33], v[32:33], 2.0, -v[36:37]
	v_fma_f64 v[30:31], v[30:31], 2.0, -v[38:39]
	ds_write2_b64 v125, v[28:29], v[34:35] offset0:72 offset1:172
	ds_write2_b64 v126, v[32:33], v[30:31] offset1:100
	ds_write2_b64 v127, v[36:37], v[38:39] offset0:72 offset1:172
	v_mul_u32_u24_e32 v28, 3, v86
	v_lshlrev_b32_e32 v44, 4, v28
	v_lshl_add_u64 v[58:59], s[8:9], 0, v[44:45]
	v_mul_i32_i24_e32 v44, 3, v90
	v_lshl_add_u64 v[60:61], v[44:45], 4, s[8:9]
	v_lshl_add_u64 v[70:71], v[58:59], 0, s[4:5]
	;; [unrolled: 1-line block ×3, first 2 shown]
	s_movk_i32 s0, 0x50
	s_waitcnt lgkmcnt(0)
	s_barrier
	global_load_dwordx4 v[28:31], v[70:71], off offset:32
	global_load_dwordx4 v[32:35], v[40:41], off offset:32
	;; [unrolled: 1-line block ×3, first 2 shown]
	v_add_u32_e32 v40, 0xffffffb0, v86
	v_cmp_gt_u32_e64 s[0:1], s0, v86
	s_waitcnt vmcnt(1)
	v_mul_f64 v[144:145], v[26:27], v[34:35]
	v_cndmask_b32_e64 v101, v40, v97, s[0:1]
	v_lshl_add_u32 v44, v101, 1, v101
	v_lshl_add_u64 v[62:63], v[44:45], 4, s[8:9]
	v_lshl_add_u64 v[80:81], v[62:63], 0, s[4:5]
	s_movk_i32 s4, 0x1000
	v_add_co_u32_e64 v62, s[0:1], s4, v62
	global_load_dwordx4 v[40:43], v[80:81], off offset:16
	s_nop 0
	v_addc_co_u32_e64 v63, s[0:1], 0, v63, s[0:1]
	global_load_dwordx4 v[62:65], v[62:63], off offset:2144
	s_movk_i32 s0, 0x2000
	v_add_co_u32_e64 v82, s[0:1], s0, v58
	v_lshl_add_u32 v44, v104, 3, 0
	s_nop 0
	v_addc_co_u32_e64 v83, s[0:1], 0, v59, s[0:1]
	global_load_dwordx4 v[66:69], v[82:83], off offset:1888
	global_load_dwordx4 v[76:79], v[80:81], off offset:32
	s_mov_b64 s[0:1], 0x2760
	v_lshl_add_u64 v[124:125], v[58:59], 0, s[0:1]
	global_load_dwordx4 v[80:83], v[124:125], off offset:32
	global_load_dwordx4 v[108:111], v[70:71], off offset:16
	s_movk_i32 s0, 0x4000
	v_add_co_u32_e64 v70, s[0:1], s0, v58
	s_nop 1
	v_addc_co_u32_e64 v71, s[0:1], 0, v59, s[0:1]
	s_mov_b64 s[0:1], 0x4560
	global_load_dwordx4 v[112:115], v[70:71], off offset:1376
	global_load_dwordx4 v[120:123], v[124:125], off offset:16
	v_lshl_add_u64 v[70:71], v[58:59], 0, s[0:1]
	global_load_dwordx4 v[124:127], v[70:71], off offset:16
	v_add_co_u32_e64 v58, s[0:1], s4, v58
	s_nop 1
	v_addc_co_u32_e64 v59, s[0:1], 0, v59, s[0:1]
	global_load_dwordx4 v[128:131], v[58:59], off offset:2144
	global_load_dwordx4 v[132:135], v[70:71], off offset:32
	v_add_co_u32_e64 v58, s[0:1], s4, v60
	ds_read2_b64 v[136:139], v74 offset0:32 offset1:192
	s_nop 0
	v_addc_co_u32_e64 v59, s[0:1], 0, v61, s[0:1]
	global_load_dwordx4 v[58:61], v[58:59], off offset:2144
	ds_read2_b64 v[140:143], v72 offset0:32 offset1:192
	s_waitcnt lgkmcnt(1)
	v_mul_f64 v[70:71], v[136:137], v[30:31]
	v_fma_f64 v[70:71], v[24:25], v[28:29], -v[70:71]
	v_mul_f64 v[24:25], v[24:25], v[30:31]
	v_fmac_f64_e32 v[24:25], v[136:137], v[28:29]
	v_mul_f64 v[28:29], v[138:139], v[34:35]
	v_fma_f64 v[136:137], v[26:27], v[32:33], -v[28:29]
	v_fmac_f64_e32 v[144:145], v[138:139], v[32:33]
	ds_read2_b64 v[32:35], v99 offset0:32 offset1:192
	s_waitcnt vmcnt(12) lgkmcnt(1)
	v_mul_f64 v[26:27], v[140:141], v[38:39]
	v_mul_f64 v[30:31], v[20:21], v[38:39]
	v_fma_f64 v[138:139], v[20:21], v[36:37], -v[26:27]
	v_fmac_f64_e32 v[30:31], v[140:141], v[36:37]
	ds_read2_b64 v[36:39], v107 offset0:32 offset1:192
	s_movk_i32 s0, 0x4f
	v_cmp_lt_u32_e64 s[0:1], s0, v86
	s_waitcnt vmcnt(11)
	v_mul_f64 v[20:21], v[142:143], v[42:43]
	v_fma_f64 v[20:21], v[22:23], v[40:41], -v[20:21]
	v_mul_f64 v[26:27], v[22:23], v[42:43]
	s_waitcnt vmcnt(10) lgkmcnt(1)
	v_mul_f64 v[22:23], v[32:33], v[64:65]
	v_fmac_f64_e32 v[26:27], v[142:143], v[40:41]
	v_fma_f64 v[40:41], v[16:17], v[62:63], -v[22:23]
	v_mul_f64 v[28:29], v[16:17], v[64:65]
	v_fmac_f64_e32 v[28:29], v[32:33], v[62:63]
	s_waitcnt vmcnt(9)
	v_mul_f64 v[16:17], v[34:35], v[68:69]
	v_fma_f64 v[32:33], v[18:19], v[66:67], -v[16:17]
	s_waitcnt vmcnt(8) lgkmcnt(0)
	v_mul_f64 v[16:17], v[36:37], v[78:79]
	v_mul_f64 v[22:23], v[18:19], v[68:69]
	v_fma_f64 v[42:43], v[12:13], v[76:77], -v[16:17]
	ds_read2_b64 v[16:19], v95 offset0:32 offset1:192
	v_mul_f64 v[62:63], v[12:13], v[78:79]
	s_waitcnt vmcnt(7)
	v_mul_f64 v[12:13], v[38:39], v[82:83]
	v_fma_f64 v[64:65], v[14:15], v[80:81], -v[12:13]
	v_fmac_f64_e32 v[22:23], v[34:35], v[66:67]
	s_waitcnt vmcnt(6) lgkmcnt(0)
	v_mul_f64 v[12:13], v[18:19], v[110:111]
	v_fma_f64 v[66:67], v[10:11], v[108:109], -v[12:13]
	v_mul_f64 v[68:69], v[10:11], v[110:111]
	ds_read2_b64 v[10:13], v73 offset0:32 offset1:192
	v_fmac_f64_e32 v[68:69], v[18:19], v[108:109]
	s_waitcnt vmcnt(5)
	v_mul_f64 v[18:19], v[16:17], v[114:115]
	v_fma_f64 v[18:19], v[8:9], v[112:113], -v[18:19]
	v_mul_f64 v[34:35], v[8:9], v[114:115]
	s_waitcnt vmcnt(4) lgkmcnt(0)
	v_mul_f64 v[8:9], v[10:11], v[122:123]
	v_fmac_f64_e32 v[62:63], v[36:37], v[76:77]
	v_fma_f64 v[8:9], v[4:5], v[120:121], -v[8:9]
	v_mul_f64 v[36:37], v[4:5], v[122:123]
	s_waitcnt vmcnt(3)
	v_mul_f64 v[4:5], v[12:13], v[126:127]
	v_fmac_f64_e32 v[36:37], v[10:11], v[120:121]
	v_fma_f64 v[10:11], v[6:7], v[124:125], -v[4:5]
	ds_read_b64 v[4:5], v75
	v_mul_f64 v[14:15], v[14:15], v[82:83]
	v_fmac_f64_e32 v[14:15], v[38:39], v[80:81]
	v_mul_f64 v[38:39], v[6:7], v[126:127]
	v_fmac_f64_e32 v[38:39], v[12:13], v[124:125]
	ds_read_b64 v[12:13], v117 offset:24320
	ds_read_b64 v[76:77], v91
	s_waitcnt vmcnt(2) lgkmcnt(2)
	v_mul_f64 v[6:7], v[4:5], v[130:131]
	v_fmac_f64_e32 v[34:35], v[16:17], v[112:113]
	v_fma_f64 v[16:17], v[56:57], v[128:129], -v[6:7]
	v_mul_f64 v[56:57], v[56:57], v[130:131]
	v_fmac_f64_e32 v[56:57], v[4:5], v[128:129]
	ds_read2st64_b64 v[4:7], v117 offset1:15
	ds_read_b64 v[78:79], v87
	s_waitcnt vmcnt(1) lgkmcnt(3)
	v_mul_f64 v[80:81], v[12:13], v[134:135]
	v_fma_f64 v[80:81], v[54:55], v[132:133], -v[80:81]
	v_mul_f64 v[54:55], v[54:55], v[134:135]
	v_fmac_f64_e32 v[54:55], v[12:13], v[132:133]
	s_waitcnt vmcnt(0) lgkmcnt(1)
	v_mul_f64 v[12:13], v[6:7], v[60:61]
	v_fma_f64 v[12:13], v[2:3], v[58:59], -v[12:13]
	v_mul_f64 v[2:3], v[2:3], v[60:61]
	v_fmac_f64_e32 v[2:3], v[6:7], v[58:59]
	v_add_f64 v[6:7], v[0:1], -v[66:67]
	v_add_f64 v[70:71], v[16:17], -v[70:71]
	v_fma_f64 v[0:1], v[0:1], 2.0, -v[6:7]
	v_fma_f64 v[16:17], v[16:17], 2.0, -v[70:71]
	v_add_f64 v[16:17], v[0:1], -v[16:17]
	v_fma_f64 v[0:1], v[0:1], 2.0, -v[16:17]
	ds_read_b64 v[82:83], v93
	ds_read_b64 v[108:109], v106
	s_waitcnt lgkmcnt(0)
	s_barrier
	ds_write_b64 v117, v[0:1]
	v_add_f64 v[0:1], v[56:57], -v[24:25]
	v_add_f64 v[24:25], v[6:7], -v[0:1]
	v_fma_f64 v[6:7], v[6:7], 2.0, -v[24:25]
	ds_write_b64 v117, v[6:7] offset:3200
	ds_write_b64 v117, v[16:17] offset:6400
	;; [unrolled: 1-line block ×3, first 2 shown]
	v_add_f64 v[6:7], v[52:53], -v[138:139]
	v_add_f64 v[110:111], v[12:13], -v[136:137]
	v_fma_f64 v[16:17], v[52:53], 2.0, -v[6:7]
	v_fma_f64 v[12:13], v[12:13], 2.0, -v[110:111]
	v_add_f64 v[12:13], v[16:17], -v[12:13]
	v_fma_f64 v[16:17], v[16:17], 2.0, -v[12:13]
	ds_write_b64 v93, v[16:17]
	v_add_f64 v[16:17], v[2:3], -v[144:145]
	v_add_f64 v[24:25], v[6:7], -v[16:17]
	v_fma_f64 v[6:7], v[6:7], 2.0, -v[24:25]
	ds_write_b64 v93, v[6:7] offset:3200
	ds_write_b64 v93, v[12:13] offset:6400
	;; [unrolled: 1-line block ×3, first 2 shown]
	v_mov_b32_e32 v6, 0x3200
	v_cndmask_b32_e64 v6, 0, v6, s[0:1]
	v_lshlrev_b32_e32 v7, 3, v101
	v_add3_u32 v67, 0, v6, v7
	v_add_f64 v[6:7], v[50:51], -v[20:21]
	v_add_f64 v[42:43], v[40:41], -v[42:43]
	v_fma_f64 v[12:13], v[50:51], 2.0, -v[6:7]
	v_fma_f64 v[20:21], v[40:41], 2.0, -v[42:43]
	v_add_f64 v[20:21], v[12:13], -v[20:21]
	v_fma_f64 v[12:13], v[12:13], 2.0, -v[20:21]
	v_add_f64 v[40:41], v[28:29], -v[62:63]
	ds_write_b64 v67, v[12:13]
	v_add_f64 v[12:13], v[6:7], -v[40:41]
	v_fma_f64 v[6:7], v[6:7], 2.0, -v[12:13]
	ds_write_b64 v67, v[6:7] offset:3200
	ds_write_b64 v67, v[20:21] offset:6400
	;; [unrolled: 1-line block ×3, first 2 shown]
	v_add_f64 v[6:7], v[48:49], -v[8:9]
	v_fma_f64 v[8:9], v[48:49], 2.0, -v[6:7]
	v_add_f64 v[48:49], v[32:33], -v[64:65]
	v_add_f64 v[10:11], v[46:47], -v[10:11]
	;; [unrolled: 1-line block ×3, first 2 shown]
	v_fma_f64 v[12:13], v[32:33], 2.0, -v[48:49]
	v_fma_f64 v[20:21], v[46:47], 2.0, -v[10:11]
	;; [unrolled: 1-line block ×3, first 2 shown]
	v_add_f64 v[12:13], v[8:9], -v[12:13]
	v_add_f64 v[18:19], v[20:21], -v[18:19]
	v_lshl_add_u32 v24, v86, 3, 0
	v_fma_f64 v[8:9], v[8:9], 2.0, -v[12:13]
	v_fma_f64 v[20:21], v[20:21], 2.0, -v[18:19]
	v_add_u32_e32 v95, 0x3400, v24
	v_add_f64 v[64:65], v[22:23], -v[14:15]
	v_add_f64 v[80:81], v[34:35], -v[54:55]
	;; [unrolled: 1-line block ×3, first 2 shown]
	ds_write2_b64 v95, v[8:9], v[20:21] offset0:16 offset1:176
	v_add_f64 v[8:9], v[6:7], -v[64:65]
	v_add_f64 v[14:15], v[10:11], -v[80:81]
	v_fma_f64 v[4:5], v[4:5], 2.0, -v[68:69]
	v_fma_f64 v[0:1], v[56:57], 2.0, -v[0:1]
	;; [unrolled: 1-line block ×4, first 2 shown]
	v_add_u32_e32 v99, 0x4000, v24
	v_add_f64 v[114:115], v[4:5], -v[0:1]
	v_add_u32_e32 v101, 0x4c00, v24
	v_add_u32_e32 v103, 0x5800, v24
	v_lshl_add_u32 v66, v102, 3, 0
	v_add_f64 v[70:71], v[68:69], v[70:71]
	ds_write2_b64 v99, v[6:7], v[10:11] offset0:32 offset1:192
	v_fma_f64 v[112:113], v[2:3], 2.0, -v[16:17]
	v_fma_f64 v[120:121], v[4:5], 2.0, -v[114:115]
	ds_write2_b64 v101, v[12:13], v[18:19] offset0:48 offset1:208
	ds_write2_b64 v103, v[8:9], v[14:15] offset0:64 offset1:224
	s_waitcnt lgkmcnt(0)
	s_barrier
	ds_read_b64 v[62:63], v119
	ds_read_b64 v[46:47], v66
	;; [unrolled: 1-line block ×9, first 2 shown]
	ds_read_b64 v[20:21], v117 offset:24320
	ds_read2st64_b64 v[0:3], v117 offset1:25
	ds_read2_b64 v[4:7], v72 offset0:32 offset1:192
	ds_read2_b64 v[8:11], v73 offset0:32 offset1:192
	;; [unrolled: 1-line block ×4, first 2 shown]
	v_fma_f64 v[68:69], v[68:69], 2.0, -v[70:71]
	v_add_f64 v[30:31], v[82:83], -v[30:31]
	s_waitcnt lgkmcnt(0)
	s_barrier
	ds_write_b64 v117, v[120:121]
	ds_write_b64 v117, v[68:69] offset:3200
	ds_write_b64 v117, v[114:115] offset:6400
	;; [unrolled: 1-line block ×3, first 2 shown]
	v_fma_f64 v[68:69], v[82:83], 2.0, -v[30:31]
	v_add_f64 v[70:71], v[68:69], -v[112:113]
	v_fma_f64 v[68:69], v[68:69], 2.0, -v[70:71]
	ds_write_b64 v93, v[68:69]
	v_add_f64 v[68:69], v[30:31], v[110:111]
	v_fma_f64 v[30:31], v[30:31], 2.0, -v[68:69]
	v_add_f64 v[26:27], v[78:79], -v[26:27]
	ds_write_b64 v93, v[30:31] offset:3200
	ds_write_b64 v93, v[70:71] offset:6400
	;; [unrolled: 1-line block ×3, first 2 shown]
	v_fma_f64 v[28:29], v[28:29], 2.0, -v[40:41]
	v_fma_f64 v[30:31], v[78:79], 2.0, -v[26:27]
	v_add_f64 v[28:29], v[30:31], -v[28:29]
	v_fma_f64 v[30:31], v[30:31], 2.0, -v[28:29]
	ds_write_b64 v67, v[30:31]
	v_add_f64 v[30:31], v[26:27], v[42:43]
	v_fma_f64 v[26:27], v[26:27], 2.0, -v[30:31]
	ds_write_b64 v67, v[26:27] offset:3200
	ds_write_b64 v67, v[28:29] offset:6400
	;; [unrolled: 1-line block ×3, first 2 shown]
	v_fma_f64 v[26:27], v[34:35], 2.0, -v[80:81]
	v_add_f64 v[28:29], v[108:109], -v[36:37]
	v_add_f64 v[34:35], v[76:77], -v[38:39]
	v_fma_f64 v[22:23], v[22:23], 2.0, -v[64:65]
	v_fma_f64 v[30:31], v[108:109], 2.0, -v[28:29]
	;; [unrolled: 1-line block ×3, first 2 shown]
	v_add_f64 v[22:23], v[30:31], -v[22:23]
	v_add_f64 v[26:27], v[36:37], -v[26:27]
	v_fma_f64 v[30:31], v[30:31], 2.0, -v[22:23]
	v_fma_f64 v[36:37], v[36:37], 2.0, -v[26:27]
	ds_write2_b64 v95, v[30:31], v[36:37] offset0:16 offset1:176
	v_add_f64 v[30:31], v[28:29], v[48:49]
	v_add_f64 v[36:37], v[34:35], v[50:51]
	v_fma_f64 v[28:29], v[28:29], 2.0, -v[30:31]
	v_fma_f64 v[34:35], v[34:35], 2.0, -v[36:37]
	ds_write2_b64 v99, v[28:29], v[34:35] offset0:32 offset1:192
	ds_write2_b64 v101, v[22:23], v[26:27] offset0:48 offset1:208
	;; [unrolled: 1-line block ×3, first 2 shown]
	s_waitcnt lgkmcnt(0)
	s_barrier
	s_and_saveexec_b64 s[0:1], vcc
	s_cbranch_execz .LBB0_15
; %bb.14:
	v_mov_b32_e32 v105, v45
	v_lshl_add_u64 v[22:23], v[104:105], 4, s[8:9]
	v_add_co_u32_e32 v22, vcc, 0x6000, v22
	v_mov_b32_e32 v99, v45
	s_nop 0
	v_addc_co_u32_e32 v23, vcc, 0, v23, vcc
	global_load_dwordx4 v[28:31], v[22:23], off offset:864
	s_movk_i32 s0, 0x6000
	v_lshl_add_u64 v[22:23], v[98:99], 4, s[8:9]
	v_add_co_u32_e32 v22, vcc, s0, v22
	v_mov_b32_e32 v103, v45
	s_nop 0
	v_addc_co_u32_e32 v23, vcc, 0, v23, vcc
	global_load_dwordx4 v[36:39], v[22:23], off offset:864
	v_lshl_add_u64 v[22:23], v[102:103], 4, s[8:9]
	v_add_co_u32_e32 v22, vcc, s0, v22
	v_mov_b32_e32 v95, v45
	s_nop 0
	v_addc_co_u32_e32 v23, vcc, 0, v23, vcc
	global_load_dwordx4 v[40:43], v[22:23], off offset:864
	;; [unrolled: 6-line block ×4, first 2 shown]
	v_lshl_add_u64 v[22:23], v[92:93], 4, s[8:9]
	v_add_co_u32_e32 v22, vcc, s0, v22
	ds_read_b64 v[26:27], v44
	ds_read_b64 v[34:35], v117 offset:24320
	v_addc_co_u32_e32 v23, vcc, 0, v23, vcc
	v_mov_b32_e32 v44, v96
	global_load_dwordx4 v[76:79], v[22:23], off offset:864
	v_lshl_add_u64 v[22:23], v[44:45], 4, s[8:9]
	v_add_co_u32_e32 v22, vcc, s0, v22
	v_mov_b32_e32 v44, v97
	s_nop 0
	v_addc_co_u32_e32 v23, vcc, 0, v23, vcc
	global_load_dwordx4 v[92:95], v[22:23], off offset:864
	v_lshl_add_u64 v[22:23], v[44:45], 4, s[8:9]
	v_add_co_u32_e32 v22, vcc, s0, v22
	ds_read2_b64 v[80:83], v107 offset0:32 offset1:192
	s_nop 0
	v_addc_co_u32_e32 v23, vcc, 0, v23, vcc
	global_load_dwordx4 v[96:99], v[22:23], off offset:864
	ds_read_b64 v[108:109], v119
	ds_read_b64 v[110:111], v91
	;; [unrolled: 1-line block ×3, first 2 shown]
	v_mov_b32_e32 v91, v45
	v_lshl_add_u64 v[22:23], v[90:91], 4, s[8:9]
	v_add_co_u32_e32 v22, vcc, s0, v22
	v_mul_lo_u32 v67, s3, v88
	v_mul_lo_u32 v89, s2, v89
	v_mad_u64_u32 v[64:65], s[2:3], s2, v88, 0
	v_addc_co_u32_e32 v23, vcc, 0, v23, vcc
	v_mul_i32_i24_e32 v120, 0xffffffb8, v90
	v_add3_u32 v65, v65, v89, v67
	global_load_dwordx4 v[88:91], v[22:23], off offset:864
	v_mov_b32_e32 v87, v45
	v_lshl_add_u64 v[22:23], v[86:87], 4, s[8:9]
	v_add_co_u32_e32 v22, vcc, s0, v22
	s_mov_b32 s0, 0x51eb851f
	s_nop 0
	v_addc_co_u32_e32 v23, vcc, 0, v23, vcc
	global_load_dwordx4 v[100:103], v[22:23], off offset:864
	s_waitcnt vmcnt(9) lgkmcnt(4)
	v_mul_f64 v[22:23], v[28:29], v[34:35]
	v_fmac_f64_e32 v[22:23], v[20:21], v[30:31]
	v_mul_f64 v[30:31], v[30:31], v[34:35]
	ds_read_b64 v[34:35], v118
	v_fma_f64 v[20:21], v[20:21], v[28:29], -v[30:31]
	ds_read_b64 v[114:115], v75
	ds_read_b64 v[44:45], v66
	ds_read_b64 v[118:119], v106
	ds_read2_b64 v[104:107], v74 offset0:32 offset1:192
	v_add_f64 v[22:23], v[26:27], -v[22:23]
	s_waitcnt vmcnt(8) lgkmcnt(8)
	v_mul_f64 v[28:29], v[36:37], v[82:83]
	v_fmac_f64_e32 v[28:29], v[18:19], v[38:39]
	s_waitcnt lgkmcnt(4)
	v_add_f64 v[30:31], v[34:35], -v[28:29]
	v_mul_f64 v[28:29], v[38:39], v[82:83]
	v_fma_f64 v[18:19], v[18:19], v[36:37], -v[28:29]
	v_add_f64 v[28:29], v[32:33], -v[18:19]
	v_fma_f64 v[34:35], v[34:35], 2.0, -v[30:31]
	s_waitcnt vmcnt(7)
	v_mul_f64 v[18:19], v[40:41], v[80:81]
	v_mul_f64 v[36:37], v[42:43], v[80:81]
	v_fmac_f64_e32 v[18:19], v[16:17], v[42:43]
	v_fma_f64 v[16:17], v[16:17], v[40:41], -v[36:37]
	ds_read2_b64 v[80:83], v73 offset0:32 offset1:192
	s_waitcnt lgkmcnt(3)
	v_add_f64 v[18:19], v[44:45], -v[18:19]
	v_fma_f64 v[38:39], v[44:45], 2.0, -v[18:19]
	s_waitcnt vmcnt(6) lgkmcnt(1)
	v_mul_f64 v[40:41], v[48:49], v[106:107]
	v_fmac_f64_e32 v[40:41], v[14:15], v[50:51]
	v_add_f64 v[42:43], v[108:109], -v[40:41]
	v_mul_f64 v[40:41], v[50:51], v[106:107]
	v_fma_f64 v[14:15], v[14:15], v[48:49], -v[40:41]
	v_add_f64 v[40:41], v[62:63], -v[14:15]
	v_fma_f64 v[44:45], v[62:63], 2.0, -v[40:41]
	s_waitcnt vmcnt(5)
	v_mul_f64 v[14:15], v[68:69], v[104:105]
	v_mul_f64 v[48:49], v[70:71], v[104:105]
	v_fmac_f64_e32 v[14:15], v[12:13], v[70:71]
	v_fma_f64 v[12:13], v[12:13], v[68:69], -v[48:49]
	v_add_f64 v[12:13], v[60:61], -v[12:13]
	v_fma_f64 v[48:49], v[60:61], 2.0, -v[12:13]
	ds_read2_b64 v[70:73], v72 offset0:32 offset1:192
	v_add_f64 v[14:15], v[114:115], -v[14:15]
	s_waitcnt vmcnt(4) lgkmcnt(1)
	v_mul_f64 v[60:61], v[76:77], v[82:83]
	v_fmac_f64_e32 v[60:61], v[10:11], v[78:79]
	v_add_f64 v[62:63], v[110:111], -v[60:61]
	v_mul_f64 v[60:61], v[78:79], v[82:83]
	v_fma_f64 v[10:11], v[10:11], v[76:77], -v[60:61]
	v_add_f64 v[60:61], v[58:59], -v[10:11]
	v_fma_f64 v[66:67], v[58:59], 2.0, -v[60:61]
	s_waitcnt vmcnt(3)
	v_mul_f64 v[10:11], v[92:93], v[80:81]
	v_mul_f64 v[74:75], v[94:95], v[80:81]
	v_fmac_f64_e32 v[10:11], v[8:9], v[94:95]
	v_fma_f64 v[8:9], v[8:9], v[92:93], -v[74:75]
	v_add_f64 v[10:11], v[118:119], -v[10:11]
	v_add_f64 v[8:9], v[56:57], -v[8:9]
	v_fma_f64 v[58:59], v[118:119], 2.0, -v[10:11]
	s_waitcnt vmcnt(2) lgkmcnt(0)
	v_mul_f64 v[74:75], v[96:97], v[72:73]
	v_mul_f64 v[72:73], v[98:99], v[72:73]
	v_fmac_f64_e32 v[74:75], v[6:7], v[98:99]
	v_fma_f64 v[6:7], v[6:7], v[96:97], -v[72:73]
	v_add_u32_e32 v72, v116, v120
	ds_read_b64 v[80:81], v72
	v_add_f64 v[72:73], v[54:55], -v[6:7]
	v_fma_f64 v[76:77], v[54:55], 2.0, -v[72:73]
	v_add_f64 v[74:75], v[112:113], -v[74:75]
	v_fma_f64 v[78:79], v[112:113], 2.0, -v[74:75]
	v_fma_f64 v[56:57], v[56:57], 2.0, -v[8:9]
	;; [unrolled: 1-line block ×4, first 2 shown]
	v_add_f64 v[16:17], v[46:47], -v[16:17]
	s_waitcnt vmcnt(1)
	v_mul_f64 v[6:7], v[88:89], v[70:71]
	v_fmac_f64_e32 v[6:7], v[4:5], v[90:91]
	s_waitcnt lgkmcnt(0)
	v_add_f64 v[6:7], v[80:81], -v[6:7]
	v_fma_f64 v[54:55], v[80:81], 2.0, -v[6:7]
	ds_read2st64_b64 v[80:83], v117 offset1:25
	v_mul_f64 v[70:71], v[90:91], v[70:71]
	v_fma_f64 v[4:5], v[4:5], v[88:89], -v[70:71]
	v_add_f64 v[4:5], v[52:53], -v[4:5]
	v_fma_f64 v[52:53], v[52:53], 2.0, -v[4:5]
	s_waitcnt vmcnt(0) lgkmcnt(0)
	v_mul_f64 v[70:71], v[100:101], v[82:83]
	v_fmac_f64_e32 v[70:71], v[2:3], v[102:103]
	v_add_f64 v[90:91], v[80:81], -v[70:71]
	v_mul_f64 v[70:71], v[102:103], v[82:83]
	v_fma_f64 v[2:3], v[2:3], v[100:101], -v[70:71]
	v_add_f64 v[88:89], v[0:1], -v[2:3]
	v_fma_f64 v[92:93], v[0:1], 2.0, -v[88:89]
	v_mul_hi_u32 v0, v86, s0
	v_lshrrev_b32_e32 v0, 9, v0
	v_mul_u32_u24_e32 v0, 0x640, v0
	v_sub_u32_e32 v70, v86, v0
	v_mad_u64_u32 v[2:3], s[2:3], s16, v70, 0
	v_mov_b32_e32 v0, v3
	v_mad_u64_u32 v[0:1], s[2:3], s17, v70, v[0:1]
	v_mov_b32_e32 v3, v0
	v_lshl_add_u64 v[0:1], v[64:65], 4, s[6:7]
	v_lshl_add_u64 v[0:1], v[84:85], 4, v[0:1]
	v_fma_f64 v[94:95], v[80:81], 2.0, -v[90:91]
	v_lshl_add_u64 v[2:3], v[2:3], 4, v[0:1]
	v_add_u32_e32 v65, 0x640, v70
	global_store_dwordx4 v[2:3], v[92:95], off
	v_mad_u64_u32 v[2:3], s[2:3], s16, v65, 0
	v_mov_b32_e32 v64, v3
	v_mad_u64_u32 v[64:65], s[2:3], s17, v65, v[64:65]
	v_mov_b32_e32 v3, v64
	v_lshl_add_u64 v[2:3], v[2:3], 4, v[0:1]
	global_store_dwordx4 v[2:3], v[88:91], off
	v_add_u32_e32 v2, 0xa0, v86
	v_mul_hi_u32 v3, v2, s0
	v_lshrrev_b32_e32 v3, 9, v3
	v_mul_u32_u24_e32 v64, 0x640, v3
	v_sub_u32_e32 v2, v2, v64
	v_mad_u32_u24 v70, v3, s10, v2
	v_mad_u64_u32 v[2:3], s[2:3], s16, v70, 0
	v_mov_b32_e32 v64, v3
	v_mad_u64_u32 v[64:65], s[2:3], s17, v70, v[64:65]
	v_mov_b32_e32 v3, v64
	v_lshl_add_u64 v[2:3], v[2:3], 4, v[0:1]
	global_store_dwordx4 v[2:3], v[52:55], off
	v_fma_f64 v[36:37], v[46:47], 2.0, -v[16:17]
	v_fma_f64 v[46:47], v[108:109], 2.0, -v[42:43]
	v_add_u32_e32 v53, 0x640, v70
	v_mad_u64_u32 v[2:3], s[2:3], s16, v53, 0
	v_mov_b32_e32 v52, v3
	v_mad_u64_u32 v[52:53], s[2:3], s17, v53, v[52:53]
	v_mov_b32_e32 v3, v52
	v_lshl_add_u64 v[2:3], v[2:3], 4, v[0:1]
	global_store_dwordx4 v[2:3], v[4:7], off
	v_add_u32_e32 v2, 0x140, v86
	v_mul_hi_u32 v3, v2, s0
	v_lshrrev_b32_e32 v3, 9, v3
	v_mul_u32_u24_e32 v4, 0x640, v3
	v_sub_u32_e32 v2, v2, v4
	v_mad_u32_u24 v6, v3, s10, v2
	v_mad_u64_u32 v[2:3], s[2:3], s16, v6, 0
	v_mov_b32_e32 v4, v3
	v_mad_u64_u32 v[4:5], s[2:3], s17, v6, v[4:5]
	v_mov_b32_e32 v3, v4
	v_lshl_add_u64 v[2:3], v[2:3], 4, v[0:1]
	v_add_u32_e32 v5, 0x640, v6
	global_store_dwordx4 v[2:3], v[76:79], off
	v_mad_u64_u32 v[2:3], s[2:3], s16, v5, 0
	v_mov_b32_e32 v4, v3
	v_mad_u64_u32 v[4:5], s[2:3], s17, v5, v[4:5]
	v_mov_b32_e32 v3, v4
	v_lshl_add_u64 v[2:3], v[2:3], 4, v[0:1]
	global_store_dwordx4 v[2:3], v[72:75], off
	v_add_u32_e32 v2, 0x1e0, v86
	v_mul_hi_u32 v3, v2, s0
	v_lshrrev_b32_e32 v3, 9, v3
	v_mul_u32_u24_e32 v4, 0x640, v3
	v_sub_u32_e32 v2, v2, v4
	v_mad_u32_u24 v6, v3, s10, v2
	v_mad_u64_u32 v[2:3], s[2:3], s16, v6, 0
	v_mov_b32_e32 v4, v3
	v_mad_u64_u32 v[4:5], s[2:3], s17, v6, v[4:5]
	v_mov_b32_e32 v3, v4
	v_lshl_add_u64 v[2:3], v[2:3], 4, v[0:1]
	v_add_u32_e32 v5, 0x640, v6
	global_store_dwordx4 v[2:3], v[56:59], off
	;; [unrolled: 19-line block ×6, first 2 shown]
	v_mad_u64_u32 v[2:3], s[2:3], s16, v5, 0
	v_mov_b32_e32 v4, v3
	v_mad_u64_u32 v[4:5], s[2:3], s17, v5, v[4:5]
	v_mov_b32_e32 v3, v4
	v_lshl_add_u64 v[2:3], v[2:3], 4, v[0:1]
	global_store_dwordx4 v[2:3], v[16:19], off
	v_add_u32_e32 v2, 0x500, v86
	v_mul_hi_u32 v3, v2, s0
	v_lshrrev_b32_e32 v3, 9, v3
	v_mul_u32_u24_e32 v4, 0x640, v3
	v_sub_u32_e32 v2, v2, v4
	v_mad_u32_u24 v6, v3, s10, v2
	v_mad_u64_u32 v[2:3], s[2:3], s16, v6, 0
	v_mov_b32_e32 v4, v3
	v_mad_u64_u32 v[4:5], s[2:3], s17, v6, v[4:5]
	v_mov_b32_e32 v3, v4
	v_fma_f64 v[32:33], v[32:33], 2.0, -v[28:29]
	v_lshl_add_u64 v[2:3], v[2:3], 4, v[0:1]
	v_add_u32_e32 v5, 0x640, v6
	global_store_dwordx4 v[2:3], v[32:35], off
	v_mad_u64_u32 v[2:3], s[2:3], s16, v5, 0
	v_mov_b32_e32 v4, v3
	v_mad_u64_u32 v[4:5], s[2:3], s17, v5, v[4:5]
	v_mov_b32_e32 v3, v4
	v_lshl_add_u64 v[2:3], v[2:3], 4, v[0:1]
	global_store_dwordx4 v[2:3], v[28:31], off
	v_add_u32_e32 v2, 0x5a0, v86
	v_mul_hi_u32 v3, v2, s0
	v_lshrrev_b32_e32 v3, 9, v3
	v_mul_u32_u24_e32 v4, 0x640, v3
	v_sub_u32_e32 v2, v2, v4
	v_mad_u32_u24 v6, v3, s10, v2
	v_mad_u64_u32 v[2:3], s[0:1], s16, v6, 0
	v_mov_b32_e32 v4, v3
	v_mad_u64_u32 v[4:5], s[0:1], s17, v6, v[4:5]
	v_add_f64 v[20:21], v[24:25], -v[20:21]
	v_mov_b32_e32 v3, v4
	v_fma_f64 v[26:27], v[26:27], 2.0, -v[22:23]
	v_fma_f64 v[24:25], v[24:25], 2.0, -v[20:21]
	v_lshl_add_u64 v[2:3], v[2:3], 4, v[0:1]
	v_add_u32_e32 v5, 0x640, v6
	global_store_dwordx4 v[2:3], v[24:27], off
	v_mad_u64_u32 v[2:3], s[0:1], s16, v5, 0
	v_mov_b32_e32 v4, v3
	v_mad_u64_u32 v[4:5], s[0:1], s17, v5, v[4:5]
	v_mov_b32_e32 v3, v4
	v_lshl_add_u64 v[0:1], v[2:3], 4, v[0:1]
	global_store_dwordx4 v[0:1], v[20:23], off
.LBB0_15:
	s_endpgm
	.section	.rodata,"a",@progbits
	.p2align	6, 0x0
	.amdhsa_kernel fft_rtc_fwd_len3200_factors_10_10_4_4_2_wgs_160_tpt_160_halfLds_dp_op_CI_CI_sbrr_dirReg
		.amdhsa_group_segment_fixed_size 0
		.amdhsa_private_segment_fixed_size 0
		.amdhsa_kernarg_size 104
		.amdhsa_user_sgpr_count 2
		.amdhsa_user_sgpr_dispatch_ptr 0
		.amdhsa_user_sgpr_queue_ptr 0
		.amdhsa_user_sgpr_kernarg_segment_ptr 1
		.amdhsa_user_sgpr_dispatch_id 0
		.amdhsa_user_sgpr_kernarg_preload_length 0
		.amdhsa_user_sgpr_kernarg_preload_offset 0
		.amdhsa_user_sgpr_private_segment_size 0
		.amdhsa_uses_dynamic_stack 0
		.amdhsa_enable_private_segment 0
		.amdhsa_system_sgpr_workgroup_id_x 1
		.amdhsa_system_sgpr_workgroup_id_y 0
		.amdhsa_system_sgpr_workgroup_id_z 0
		.amdhsa_system_sgpr_workgroup_info 0
		.amdhsa_system_vgpr_workitem_id 0
		.amdhsa_next_free_vgpr 156
		.amdhsa_next_free_sgpr 32
		.amdhsa_accum_offset 156
		.amdhsa_reserve_vcc 1
		.amdhsa_float_round_mode_32 0
		.amdhsa_float_round_mode_16_64 0
		.amdhsa_float_denorm_mode_32 3
		.amdhsa_float_denorm_mode_16_64 3
		.amdhsa_dx10_clamp 1
		.amdhsa_ieee_mode 1
		.amdhsa_fp16_overflow 0
		.amdhsa_tg_split 0
		.amdhsa_exception_fp_ieee_invalid_op 0
		.amdhsa_exception_fp_denorm_src 0
		.amdhsa_exception_fp_ieee_div_zero 0
		.amdhsa_exception_fp_ieee_overflow 0
		.amdhsa_exception_fp_ieee_underflow 0
		.amdhsa_exception_fp_ieee_inexact 0
		.amdhsa_exception_int_div_zero 0
	.end_amdhsa_kernel
	.text
.Lfunc_end0:
	.size	fft_rtc_fwd_len3200_factors_10_10_4_4_2_wgs_160_tpt_160_halfLds_dp_op_CI_CI_sbrr_dirReg, .Lfunc_end0-fft_rtc_fwd_len3200_factors_10_10_4_4_2_wgs_160_tpt_160_halfLds_dp_op_CI_CI_sbrr_dirReg
                                        ; -- End function
	.section	.AMDGPU.csdata,"",@progbits
; Kernel info:
; codeLenInByte = 14776
; NumSgprs: 38
; NumVgprs: 156
; NumAgprs: 0
; TotalNumVgprs: 156
; ScratchSize: 0
; MemoryBound: 1
; FloatMode: 240
; IeeeMode: 1
; LDSByteSize: 0 bytes/workgroup (compile time only)
; SGPRBlocks: 4
; VGPRBlocks: 19
; NumSGPRsForWavesPerEU: 38
; NumVGPRsForWavesPerEU: 156
; AccumOffset: 156
; Occupancy: 3
; WaveLimiterHint : 1
; COMPUTE_PGM_RSRC2:SCRATCH_EN: 0
; COMPUTE_PGM_RSRC2:USER_SGPR: 2
; COMPUTE_PGM_RSRC2:TRAP_HANDLER: 0
; COMPUTE_PGM_RSRC2:TGID_X_EN: 1
; COMPUTE_PGM_RSRC2:TGID_Y_EN: 0
; COMPUTE_PGM_RSRC2:TGID_Z_EN: 0
; COMPUTE_PGM_RSRC2:TIDIG_COMP_CNT: 0
; COMPUTE_PGM_RSRC3_GFX90A:ACCUM_OFFSET: 38
; COMPUTE_PGM_RSRC3_GFX90A:TG_SPLIT: 0
	.text
	.p2alignl 6, 3212836864
	.fill 256, 4, 3212836864
	.type	__hip_cuid_76900c38070a0c7a,@object ; @__hip_cuid_76900c38070a0c7a
	.section	.bss,"aw",@nobits
	.globl	__hip_cuid_76900c38070a0c7a
__hip_cuid_76900c38070a0c7a:
	.byte	0                               ; 0x0
	.size	__hip_cuid_76900c38070a0c7a, 1

	.ident	"AMD clang version 19.0.0git (https://github.com/RadeonOpenCompute/llvm-project roc-6.4.0 25133 c7fe45cf4b819c5991fe208aaa96edf142730f1d)"
	.section	".note.GNU-stack","",@progbits
	.addrsig
	.addrsig_sym __hip_cuid_76900c38070a0c7a
	.amdgpu_metadata
---
amdhsa.kernels:
  - .agpr_count:     0
    .args:
      - .actual_access:  read_only
        .address_space:  global
        .offset:         0
        .size:           8
        .value_kind:     global_buffer
      - .offset:         8
        .size:           8
        .value_kind:     by_value
      - .actual_access:  read_only
        .address_space:  global
        .offset:         16
        .size:           8
        .value_kind:     global_buffer
      - .actual_access:  read_only
        .address_space:  global
        .offset:         24
        .size:           8
        .value_kind:     global_buffer
      - .actual_access:  read_only
        .address_space:  global
        .offset:         32
        .size:           8
        .value_kind:     global_buffer
      - .offset:         40
        .size:           8
        .value_kind:     by_value
      - .actual_access:  read_only
        .address_space:  global
        .offset:         48
        .size:           8
        .value_kind:     global_buffer
      - .actual_access:  read_only
        .address_space:  global
        .offset:         56
        .size:           8
        .value_kind:     global_buffer
      - .offset:         64
        .size:           4
        .value_kind:     by_value
      - .actual_access:  read_only
        .address_space:  global
        .offset:         72
        .size:           8
        .value_kind:     global_buffer
      - .actual_access:  read_only
        .address_space:  global
        .offset:         80
        .size:           8
        .value_kind:     global_buffer
      - .actual_access:  read_only
        .address_space:  global
        .offset:         88
        .size:           8
        .value_kind:     global_buffer
      - .actual_access:  write_only
        .address_space:  global
        .offset:         96
        .size:           8
        .value_kind:     global_buffer
    .group_segment_fixed_size: 0
    .kernarg_segment_align: 8
    .kernarg_segment_size: 104
    .language:       OpenCL C
    .language_version:
      - 2
      - 0
    .max_flat_workgroup_size: 160
    .name:           fft_rtc_fwd_len3200_factors_10_10_4_4_2_wgs_160_tpt_160_halfLds_dp_op_CI_CI_sbrr_dirReg
    .private_segment_fixed_size: 0
    .sgpr_count:     38
    .sgpr_spill_count: 0
    .symbol:         fft_rtc_fwd_len3200_factors_10_10_4_4_2_wgs_160_tpt_160_halfLds_dp_op_CI_CI_sbrr_dirReg.kd
    .uniform_work_group_size: 1
    .uses_dynamic_stack: false
    .vgpr_count:     156
    .vgpr_spill_count: 0
    .wavefront_size: 64
amdhsa.target:   amdgcn-amd-amdhsa--gfx950
amdhsa.version:
  - 1
  - 2
...

	.end_amdgpu_metadata
